;; amdgpu-corpus repo=ROCm/rocFFT kind=compiled arch=gfx906 opt=O3
	.text
	.amdgcn_target "amdgcn-amd-amdhsa--gfx906"
	.amdhsa_code_object_version 6
	.protected	bluestein_single_fwd_len338_dim1_dp_op_CI_CI ; -- Begin function bluestein_single_fwd_len338_dim1_dp_op_CI_CI
	.globl	bluestein_single_fwd_len338_dim1_dp_op_CI_CI
	.p2align	8
	.type	bluestein_single_fwd_len338_dim1_dp_op_CI_CI,@function
bluestein_single_fwd_len338_dim1_dp_op_CI_CI: ; @bluestein_single_fwd_len338_dim1_dp_op_CI_CI
; %bb.0:
	s_load_dwordx4 s[8:11], s[4:5], 0x28
	v_mul_u32_u24_e32 v1, 0x9d9, v0
	v_lshrrev_b32_e32 v52, 16, v1
	v_lshl_add_u32 v184, s6, 1, v52
	v_mov_b32_e32 v185, 0
	s_waitcnt lgkmcnt(0)
	v_cmp_gt_u64_e32 vcc, s[8:9], v[184:185]
	s_and_saveexec_b64 s[0:1], vcc
	s_cbranch_execz .LBB0_10
; %bb.1:
	s_load_dwordx4 s[0:3], s[4:5], 0x18
	s_load_dwordx4 s[12:15], s[4:5], 0x0
	v_mul_lo_u16_e32 v1, 26, v52
	v_sub_u16_e32 v225, v0, v1
	v_lshlrev_b32_e32 v117, 4, v225
	s_waitcnt lgkmcnt(0)
	s_load_dwordx4 s[16:19], s[0:1], 0x0
	s_movk_i32 s8, 0x1000
	v_and_b32_e32 v52, 1, v52
	s_mov_b32 s30, 0x42a4c3d2
	s_mov_b32 s38, 0x66966769
	s_waitcnt lgkmcnt(0)
	v_mad_u64_u32 v[0:1], s[0:1], s18, v184, 0
	v_mad_u64_u32 v[2:3], s[0:1], s16, v225, 0
	s_mul_i32 s6, s17, 0x1a0
	s_mul_hi_u32 s7, s16, 0x1a0
	v_mad_u64_u32 v[4:5], s[0:1], s19, v184, v[1:2]
	s_add_i32 s6, s7, s6
	s_mul_i32 s7, s16, 0x1a0
	v_mad_u64_u32 v[5:6], s[0:1], s17, v225, v[3:4]
	v_mov_b32_e32 v1, v4
	v_lshlrev_b64 v[0:1], 4, v[0:1]
	v_mov_b32_e32 v3, v5
	v_mov_b32_e32 v6, s11
	v_lshlrev_b64 v[2:3], 4, v[2:3]
	v_add_co_u32_e32 v0, vcc, s10, v0
	v_addc_co_u32_e32 v1, vcc, v6, v1, vcc
	v_add_co_u32_e32 v0, vcc, v0, v2
	v_mov_b32_e32 v2, s13
	v_add_co_u32_e64 v236, s[0:1], s12, v117
	v_addc_co_u32_e32 v1, vcc, v1, v3, vcc
	v_addc_co_u32_e64 v20, vcc, 0, v2, s[0:1]
	global_load_dwordx4 v[53:56], v[0:1], off
	v_mov_b32_e32 v2, s6
	v_add_co_u32_e32 v0, vcc, s7, v0
	v_addc_co_u32_e32 v1, vcc, v1, v2, vcc
	global_load_dwordx4 v[48:51], v117, s[12:13]
	global_load_dwordx4 v[32:35], v117, s[12:13] offset:416
	v_mov_b32_e32 v3, s6
	v_add_co_u32_e32 v2, vcc, s7, v0
	v_addc_co_u32_e32 v3, vcc, v1, v3, vcc
	global_load_dwordx4 v[57:60], v[0:1], off
	global_load_dwordx4 v[61:64], v[2:3], off
	v_mov_b32_e32 v1, s6
	v_add_co_u32_e32 v0, vcc, s7, v2
	v_addc_co_u32_e32 v1, vcc, v3, v1, vcc
	v_mov_b32_e32 v3, s6
	v_add_co_u32_e32 v2, vcc, s7, v0
	v_addc_co_u32_e32 v3, vcc, v1, v3, vcc
	global_load_dwordx4 v[40:43], v117, s[12:13] offset:832
	global_load_dwordx4 v[16:19], v117, s[12:13] offset:1248
	global_load_dwordx4 v[65:68], v[0:1], off
	global_load_dwordx4 v[69:72], v[2:3], off
	v_mov_b32_e32 v1, s6
	v_add_co_u32_e32 v0, vcc, s7, v2
	v_addc_co_u32_e32 v1, vcc, v3, v1, vcc
	global_load_dwordx4 v[73:76], v[0:1], off
	global_load_dwordx4 v[44:47], v117, s[12:13] offset:1664
	global_load_dwordx4 v[12:15], v117, s[12:13] offset:2080
	v_mov_b32_e32 v2, s6
	v_add_co_u32_e32 v0, vcc, s7, v0
	v_addc_co_u32_e32 v1, vcc, v1, v2, vcc
	global_load_dwordx4 v[77:80], v[0:1], off
	v_add_co_u32_e32 v0, vcc, s7, v0
	v_addc_co_u32_e32 v1, vcc, v1, v2, vcc
	global_load_dwordx4 v[81:84], v[0:1], off
	global_load_dwordx4 v[36:39], v117, s[12:13] offset:2496
	global_load_dwordx4 v[8:11], v117, s[12:13] offset:2912
	v_add_co_u32_e32 v0, vcc, s7, v0
	v_addc_co_u32_e32 v1, vcc, v1, v2, vcc
	global_load_dwordx4 v[85:88], v[0:1], off
	v_add_co_u32_e32 v0, vcc, s7, v0
	v_addc_co_u32_e32 v1, vcc, v1, v2, vcc
	global_load_dwordx4 v[89:92], v[0:1], off
	global_load_dwordx4 v[24:27], v117, s[12:13] offset:3328
	global_load_dwordx4 v[4:7], v117, s[12:13] offset:3744
	v_add_co_u32_e32 v0, vcc, s7, v0
	v_addc_co_u32_e32 v1, vcc, v1, v2, vcc
	v_add_co_u32_e32 v105, vcc, s8, v236
	v_addc_co_u32_e32 v106, vcc, 0, v20, vcc
	;; [unrolled: 2-line block ×3, first 2 shown]
	global_load_dwordx4 v[93:96], v[0:1], off
	v_mov_b32_e32 v22, s6
	v_add_co_u32_e32 v107, vcc, s7, v20
	global_load_dwordx4 v[97:100], v[20:21], off
	global_load_dwordx4 v[28:31], v[105:106], off offset:64
	global_load_dwordx4 v[0:3], v[105:106], off offset:480
	v_addc_co_u32_e32 v108, vcc, v21, v22, vcc
	global_load_dwordx4 v[101:104], v[107:108], off
	global_load_dwordx4 v[20:23], v[105:106], off offset:896
	v_cmp_eq_u32_e32 vcc, 1, v52
	s_load_dwordx4 s[8:11], s[2:3], 0x0
	s_mov_b32 s20, 0x2ef20147
	s_mov_b32 s26, 0x24c2f84
	s_mov_b32 s36, 0x4bc48dbf
	s_mov_b32 s25, 0xbfddbe06
	s_mov_b32 s24, 0x4267c47c
	s_mov_b32 s31, 0xbfea55e2
	s_mov_b32 s39, 0xbfefc445
	s_mov_b32 s21, 0xbfedeba7
	s_mov_b32 s27, 0xbfe5384d
	s_mov_b32 s37, 0xbfcea1e5
	s_mov_b32 s18, 0xe00740e9
	s_waitcnt vmcnt(24)
	v_mul_f64 v[105:106], v[55:56], v[50:51]
	v_mul_f64 v[107:108], v[53:54], v[50:51]
	s_mov_b32 s16, 0x1ea71119
	s_mov_b32 s2, 0xebaa3ed8
	;; [unrolled: 1-line block ×4, first 2 shown]
	s_waitcnt vmcnt(22)
	v_mul_f64 v[109:110], v[59:60], v[34:35]
	v_mul_f64 v[111:112], v[57:58], v[34:35]
	v_fma_f64 v[53:54], v[53:54], v[48:49], v[105:106]
	v_fma_f64 v[55:56], v[55:56], v[48:49], -v[107:108]
	s_mov_b32 s28, 0x93053d00
	s_mov_b32 s19, 0x3fec55a7
	;; [unrolled: 1-line block ×4, first 2 shown]
	v_fma_f64 v[57:58], v[57:58], v[32:33], v[109:110]
	v_fma_f64 v[59:60], v[59:60], v[32:33], -v[111:112]
	s_mov_b32 s7, 0xbfd6b1d8
	s_waitcnt vmcnt(20)
	v_mul_f64 v[113:114], v[63:64], v[42:43]
	v_mul_f64 v[105:106], v[61:62], v[42:43]
	s_waitcnt vmcnt(18)
	v_mul_f64 v[107:108], v[67:68], v[18:19]
	v_mul_f64 v[115:116], v[65:66], v[18:19]
	s_mov_b32 s23, 0xbfe7f3cc
	s_mov_b32 s29, 0xbfef11f4
	;; [unrolled: 1-line block ×3, first 2 shown]
	s_waitcnt vmcnt(15)
	v_mul_f64 v[109:110], v[71:72], v[46:47]
	v_mul_f64 v[111:112], v[69:70], v[46:47]
	v_fma_f64 v[61:62], v[61:62], v[40:41], v[113:114]
	v_fma_f64 v[63:64], v[63:64], v[40:41], -v[105:106]
	v_fma_f64 v[65:66], v[65:66], v[16:17], v[107:108]
	v_fma_f64 v[67:68], v[67:68], v[16:17], -v[115:116]
	v_mov_b32_e32 v105, 0x1520
	v_cndmask_b32_e32 v227, 0, v105, vcc
	v_fma_f64 v[69:70], v[69:70], v[44:45], v[109:110]
	v_fma_f64 v[71:72], v[71:72], v[44:45], -v[111:112]
	v_add_u32_e32 v226, v227, v117
	ds_write_b128 v226, v[53:56]
	ds_write_b128 v226, v[57:60] offset:416
	ds_write_b128 v226, v[61:64] offset:832
	;; [unrolled: 1-line block ×4, first 2 shown]
	s_waitcnt vmcnt(14)
	v_mul_f64 v[52:53], v[75:76], v[14:15]
	v_mul_f64 v[54:55], v[73:74], v[14:15]
	s_waitcnt vmcnt(11)
	v_mul_f64 v[56:57], v[79:80], v[38:39]
	v_mul_f64 v[58:59], v[77:78], v[38:39]
	;; [unrolled: 3-line block ×3, first 2 shown]
	s_mov_b32 s40, s26
	s_waitcnt vmcnt(7)
	v_mul_f64 v[64:65], v[87:88], v[26:27]
	v_mul_f64 v[66:67], v[85:86], v[26:27]
	s_waitcnt vmcnt(6)
	v_mul_f64 v[68:69], v[91:92], v[6:7]
	v_mul_f64 v[70:71], v[89:90], v[6:7]
	v_fma_f64 v[52:53], v[73:74], v[12:13], v[52:53]
	v_fma_f64 v[54:55], v[75:76], v[12:13], -v[54:55]
	v_fma_f64 v[56:57], v[77:78], v[36:37], v[56:57]
	v_fma_f64 v[58:59], v[79:80], v[36:37], -v[58:59]
	;; [unrolled: 2-line block ×5, first 2 shown]
	s_mov_b32 s35, 0x3fefc445
	s_mov_b32 s34, s38
	;; [unrolled: 1-line block ×3, first 2 shown]
	s_waitcnt vmcnt(3)
	v_mul_f64 v[72:73], v[95:96], v[30:31]
	v_mul_f64 v[74:75], v[93:94], v[30:31]
	s_waitcnt vmcnt(2)
	v_mul_f64 v[76:77], v[99:100], v[2:3]
	v_mul_f64 v[78:79], v[97:98], v[2:3]
	;; [unrolled: 3-line block ×3, first 2 shown]
	s_mov_b32 s42, s20
	s_load_dwordx2 s[4:5], s[4:5], 0x38
	v_fma_f64 v[72:73], v[93:94], v[28:29], v[72:73]
	v_fma_f64 v[74:75], v[95:96], v[28:29], -v[74:75]
	v_fma_f64 v[76:77], v[97:98], v[0:1], v[76:77]
	v_fma_f64 v[78:79], v[99:100], v[0:1], -v[78:79]
	;; [unrolled: 2-line block ×3, first 2 shown]
	ds_write_b128 v226, v[52:55] offset:2080
	ds_write_b128 v226, v[56:59] offset:2496
	;; [unrolled: 1-line block ×8, first 2 shown]
	s_waitcnt lgkmcnt(0)
	; wave barrier
	s_waitcnt lgkmcnt(0)
	ds_read_b128 v[56:59], v226
	ds_read_b128 v[60:63], v226 offset:416
	ds_read_b128 v[64:67], v226 offset:832
	;; [unrolled: 1-line block ×9, first 2 shown]
	s_waitcnt lgkmcnt(8)
	v_add_f64 v[54:55], v[58:59], v[62:63]
	v_add_f64 v[52:53], v[56:57], v[60:61]
	ds_read_b128 v[76:79], v226 offset:4160
	ds_read_b128 v[68:71], v226 offset:4576
	;; [unrolled: 1-line block ×3, first 2 shown]
	s_waitcnt lgkmcnt(0)
	; wave barrier
	s_waitcnt lgkmcnt(0)
	v_cmp_gt_u16_e32 vcc, 13, v225
	v_add_f64 v[54:55], v[54:55], v[66:67]
	v_add_f64 v[52:53], v[52:53], v[64:65]
	v_add_f64 v[108:109], v[62:63], -v[98:99]
	v_add_f64 v[114:115], v[60:61], -v[96:97]
	v_add_f64 v[110:111], v[60:61], v[96:97]
	v_add_f64 v[112:113], v[62:63], v[98:99]
	;; [unrolled: 1-line block ×6, first 2 shown]
	v_add_f64 v[64:65], v[64:65], -v[68:69]
	v_add_f64 v[66:67], v[66:67], -v[70:71]
	v_mul_f64 v[120:121], v[108:109], s[20:21]
	v_mul_f64 v[122:123], v[108:109], s[26:27]
	;; [unrolled: 1-line block ×4, first 2 shown]
	v_add_f64 v[54:55], v[54:55], v[82:83]
	v_add_f64 v[52:53], v[52:53], v[80:81]
	v_mul_f64 v[136:137], v[114:115], s[20:21]
	v_mul_f64 v[138:139], v[114:115], s[26:27]
	v_fma_f64 v[124:125], v[110:111], s[6:7], -v[120:121]
	v_fma_f64 v[120:121], v[110:111], s[6:7], v[120:121]
	v_fma_f64 v[126:127], v[110:111], s[22:23], -v[122:123]
	v_fma_f64 v[122:123], v[110:111], s[22:23], v[122:123]
	v_add_f64 v[54:55], v[54:55], v[86:87]
	v_add_f64 v[52:53], v[52:53], v[84:85]
	v_fma_f64 v[134:135], v[112:113], s[18:19], v[128:129]
	v_fma_f64 v[140:141], v[112:113], s[16:17], v[132:133]
	v_fma_f64 v[128:129], v[112:113], s[18:19], -v[128:129]
	v_fma_f64 v[132:133], v[112:113], s[16:17], -v[132:133]
	v_fma_f64 v[144:145], v[112:113], s[6:7], v[136:137]
	v_fma_f64 v[136:137], v[112:113], s[6:7], -v[136:137]
	v_add_f64 v[54:55], v[54:55], v[102:103]
	v_add_f64 v[52:53], v[52:53], v[100:101]
	v_fma_f64 v[146:147], v[112:113], s[22:23], v[138:139]
	v_fma_f64 v[138:139], v[112:113], s[22:23], -v[138:139]
	v_mul_f64 v[150:151], v[64:65], s[30:31]
	v_add_f64 v[156:157], v[56:57], v[120:121]
	v_add_f64 v[160:161], v[56:57], v[126:127]
	;; [unrolled: 1-line block ×22, first 2 shown]
	v_add_f64 v[72:73], v[72:73], -v[76:77]
	v_add_f64 v[74:75], v[74:75], -v[78:79]
	v_add_f64 v[76:77], v[80:81], v[88:89]
	v_add_f64 v[78:79], v[82:83], v[90:91]
	v_add_f64 v[54:55], v[54:55], v[98:99]
	v_add_f64 v[80:81], v[80:81], -v[88:89]
	v_add_f64 v[82:83], v[82:83], -v[90:91]
	v_add_f64 v[88:89], v[84:85], v[92:93]
	v_add_f64 v[90:91], v[86:87], v[94:95]
	v_add_f64 v[92:93], v[84:85], -v[92:93]
	v_add_f64 v[94:95], v[86:87], -v[94:95]
	v_add_f64 v[98:99], v[102:103], v[106:107]
	v_add_f64 v[102:103], v[102:103], -v[106:107]
	v_mul_f64 v[84:85], v[108:109], s[24:25]
	v_mul_f64 v[86:87], v[108:109], s[30:31]
	;; [unrolled: 1-line block ×4, first 2 shown]
	v_add_f64 v[52:53], v[52:53], v[96:97]
	v_add_f64 v[96:97], v[100:101], v[104:105]
	v_add_f64 v[100:101], v[100:101], -v[104:105]
	v_mul_f64 v[120:121], v[74:75], s[38:39]
	v_fma_f64 v[104:105], v[110:111], s[18:19], -v[84:85]
	v_fma_f64 v[84:85], v[110:111], s[18:19], v[84:85]
	v_fma_f64 v[116:117], v[110:111], s[16:17], -v[86:87]
	v_fma_f64 v[86:87], v[110:111], s[16:17], v[86:87]
	;; [unrolled: 2-line block ×4, first 2 shown]
	v_mul_f64 v[110:111], v[114:115], s[38:39]
	v_mul_f64 v[114:115], v[114:115], s[36:37]
	v_add_f64 v[104:105], v[56:57], v[104:105]
	v_mul_f64 v[158:159], v[72:73], s[38:39]
	v_mul_f64 v[164:165], v[82:83], s[20:21]
	v_add_f64 v[152:153], v[56:57], v[106:107]
	v_mul_f64 v[166:167], v[80:81], s[20:21]
	v_add_f64 v[84:85], v[56:57], v[84:85]
	v_fma_f64 v[142:143], v[112:113], s[2:3], v[110:111]
	v_fma_f64 v[110:111], v[112:113], s[2:3], -v[110:111]
	v_fma_f64 v[148:149], v[112:113], s[28:29], v[114:115]
	v_fma_f64 v[112:113], v[112:113], s[28:29], -v[114:115]
	v_add_f64 v[114:115], v[58:59], v[134:135]
	v_add_f64 v[134:135], v[58:59], v[140:141]
	;; [unrolled: 1-line block ×3, first 2 shown]
	v_mul_f64 v[86:87], v[66:67], s[30:31]
	v_fma_f64 v[126:127], v[70:71], s[2:3], v[158:159]
	v_add_f64 v[154:155], v[58:59], v[110:111]
	v_fma_f64 v[110:111], v[62:63], s[16:17], v[150:151]
	v_add_f64 v[116:117], v[56:57], v[116:117]
	v_add_f64 v[118:119], v[56:57], v[118:119]
	;; [unrolled: 1-line block ×4, first 2 shown]
	v_fma_f64 v[106:107], v[60:61], s[16:17], -v[86:87]
	v_fma_f64 v[86:87], v[60:61], s[16:17], v[86:87]
	v_mul_f64 v[168:169], v[82:83], s[40:41]
	v_add_f64 v[110:111], v[110:111], v[114:115]
	v_fma_f64 v[114:115], v[68:69], s[2:3], -v[120:121]
	v_fma_f64 v[120:121], v[68:69], s[2:3], v[120:121]
	s_mov_b32 s25, 0x3fddbe06
	v_mul_f64 v[170:171], v[80:81], s[38:39]
	v_add_f64 v[122:123], v[106:107], v[104:105]
	v_add_f64 v[104:105], v[56:57], v[130:131]
	;; [unrolled: 1-line block ×3, first 2 shown]
	v_fma_f64 v[130:131], v[62:63], s[16:17], -v[150:151]
	v_add_f64 v[110:111], v[126:127], v[110:111]
	v_fma_f64 v[126:127], v[78:79], s[6:7], v[166:167]
	v_mul_f64 v[148:149], v[94:95], s[26:27]
	v_mul_f64 v[150:151], v[92:93], s[26:27]
	v_add_f64 v[114:115], v[114:115], v[122:123]
	v_fma_f64 v[122:123], v[76:77], s[6:7], -v[164:165]
	v_add_f64 v[84:85], v[86:87], v[84:85]
	v_add_f64 v[86:87], v[130:131], v[128:129]
	v_fma_f64 v[128:129], v[70:71], s[2:3], -v[158:159]
	v_fma_f64 v[130:131], v[90:91], s[22:23], v[150:151]
	v_add_f64 v[114:115], v[122:123], v[114:115]
	v_add_f64 v[122:123], v[126:127], v[110:111]
	v_fma_f64 v[126:127], v[88:89], s[22:23], -v[148:149]
	v_add_f64 v[110:111], v[58:59], v[112:113]
	v_add_f64 v[56:57], v[120:121], v[84:85]
	;; [unrolled: 1-line block ×3, first 2 shown]
	v_fma_f64 v[84:85], v[76:77], s[6:7], v[164:165]
	v_fma_f64 v[86:87], v[78:79], s[6:7], -v[166:167]
	v_mul_f64 v[120:121], v[102:103], s[36:37]
	v_mul_f64 v[128:129], v[64:65], s[20:21]
	v_add_f64 v[112:113], v[126:127], v[114:115]
	v_mul_f64 v[126:127], v[66:67], s[20:21]
	v_add_f64 v[114:115], v[130:131], v[122:123]
	;; [unrolled: 2-line block ×3, first 2 shown]
	v_add_f64 v[58:59], v[86:87], v[58:59]
	v_fma_f64 v[84:85], v[88:89], s[22:23], v[148:149]
	v_fma_f64 v[86:87], v[90:91], s[22:23], -v[150:151]
	v_fma_f64 v[130:131], v[96:97], s[28:29], -v[120:121]
	v_fma_f64 v[150:151], v[60:61], s[6:7], -v[126:127]
	v_fma_f64 v[158:159], v[62:63], s[6:7], v[128:129]
	v_mul_f64 v[164:165], v[74:75], s[36:37]
	v_mul_f64 v[166:167], v[72:73], s[36:37]
	v_fma_f64 v[148:149], v[98:99], s[28:29], v[122:123]
	v_add_f64 v[84:85], v[84:85], v[56:57]
	v_add_f64 v[86:87], v[86:87], v[58:59]
	v_fma_f64 v[120:121], v[96:97], s[28:29], v[120:121]
	v_fma_f64 v[122:123], v[98:99], s[28:29], -v[122:123]
	v_add_f64 v[116:117], v[150:151], v[116:117]
	v_add_f64 v[134:135], v[158:159], v[134:135]
	v_fma_f64 v[150:151], v[68:69], s[28:29], -v[164:165]
	v_fma_f64 v[158:159], v[70:71], s[28:29], v[166:167]
	v_add_f64 v[56:57], v[130:131], v[112:113]
	v_mul_f64 v[112:113], v[80:81], s[40:41]
	v_add_f64 v[58:59], v[148:149], v[114:115]
	v_add_f64 v[84:85], v[120:121], v[84:85]
	v_add_f64 v[86:87], v[122:123], v[86:87]
	v_fma_f64 v[120:121], v[76:77], s[22:23], -v[168:169]
	v_add_f64 v[114:115], v[150:151], v[116:117]
	v_add_f64 v[116:117], v[158:159], v[134:135]
	v_fma_f64 v[122:123], v[60:61], s[6:7], v[126:127]
	v_fma_f64 v[126:127], v[62:63], s[6:7], -v[128:129]
	v_fma_f64 v[128:129], v[78:79], s[22:23], v[112:113]
	v_mul_f64 v[130:131], v[94:95], s[34:35]
	v_mul_f64 v[134:135], v[92:93], s[34:35]
	;; [unrolled: 1-line block ×3, first 2 shown]
	v_add_f64 v[114:115], v[120:121], v[114:115]
	v_mul_f64 v[150:151], v[100:101], s[24:25]
	v_add_f64 v[120:121], v[122:123], v[140:141]
	v_add_f64 v[122:123], v[126:127], v[132:133]
	v_fma_f64 v[126:127], v[68:69], s[28:29], v[164:165]
	v_fma_f64 v[132:133], v[70:71], s[28:29], -v[166:167]
	v_add_f64 v[116:117], v[128:129], v[116:117]
	v_fma_f64 v[128:129], v[88:89], s[2:3], -v[130:131]
	v_fma_f64 v[140:141], v[90:91], s[2:3], v[134:135]
	v_fma_f64 v[112:113], v[78:79], s[22:23], -v[112:113]
	v_fma_f64 v[158:159], v[98:99], s[18:19], v[150:151]
	v_mul_f64 v[166:167], v[74:75], s[42:43]
	v_add_f64 v[120:121], v[126:127], v[120:121]
	v_add_f64 v[122:123], v[132:133], v[122:123]
	v_fma_f64 v[126:127], v[76:77], s[22:23], v[168:169]
	v_add_f64 v[114:115], v[128:129], v[114:115]
	v_mul_f64 v[128:129], v[66:67], s[36:37]
	v_mul_f64 v[132:133], v[64:65], s[36:37]
	v_add_f64 v[116:117], v[140:141], v[116:117]
	v_fma_f64 v[140:141], v[96:97], s[18:19], -v[148:149]
	v_mul_f64 v[168:169], v[72:73], s[42:43]
	v_add_f64 v[122:123], v[112:113], v[122:123]
	v_add_f64 v[120:121], v[126:127], v[120:121]
	v_fma_f64 v[126:127], v[88:89], s[2:3], v[130:131]
	v_fma_f64 v[130:131], v[90:91], s[2:3], -v[134:135]
	v_fma_f64 v[134:135], v[60:61], s[28:29], -v[128:129]
	v_fma_f64 v[164:165], v[62:63], s[28:29], v[132:133]
	v_add_f64 v[112:113], v[140:141], v[114:115]
	v_add_f64 v[114:115], v[158:159], v[116:117]
	v_mul_f64 v[140:141], v[80:81], s[24:25]
	v_fma_f64 v[128:129], v[60:61], s[28:29], v[128:129]
	v_add_f64 v[116:117], v[126:127], v[120:121]
	v_add_f64 v[120:121], v[130:131], v[122:123]
	;; [unrolled: 1-line block ×4, first 2 shown]
	v_fma_f64 v[126:127], v[68:69], s[6:7], -v[166:167]
	v_fma_f64 v[130:131], v[70:71], s[6:7], v[168:169]
	v_mul_f64 v[134:135], v[82:83], s[24:25]
	v_fma_f64 v[132:133], v[62:63], s[28:29], -v[132:133]
	v_fma_f64 v[142:143], v[96:97], s[18:19], v[148:149]
	v_fma_f64 v[148:149], v[98:99], s[18:19], -v[150:151]
	v_mul_f64 v[150:151], v[94:95], s[30:31]
	v_mul_f64 v[158:159], v[92:93], s[30:31]
	v_add_f64 v[118:119], v[126:127], v[118:119]
	v_add_f64 v[122:123], v[130:131], v[122:123]
	v_fma_f64 v[126:127], v[76:77], s[18:19], -v[134:135]
	v_fma_f64 v[130:131], v[78:79], s[18:19], v[140:141]
	v_add_f64 v[128:129], v[128:129], v[152:153]
	v_add_f64 v[132:133], v[132:133], v[154:155]
	v_fma_f64 v[152:153], v[68:69], s[6:7], v[166:167]
	v_fma_f64 v[154:155], v[70:71], s[6:7], -v[168:169]
	v_fma_f64 v[164:165], v[90:91], s[16:17], v[158:159]
	v_add_f64 v[116:117], v[142:143], v[116:117]
	v_add_f64 v[126:127], v[126:127], v[118:119]
	;; [unrolled: 1-line block ×3, first 2 shown]
	v_fma_f64 v[130:131], v[88:89], s[16:17], -v[150:151]
	v_add_f64 v[118:119], v[148:149], v[120:121]
	v_add_f64 v[120:121], v[152:153], v[128:129]
	;; [unrolled: 1-line block ×3, first 2 shown]
	v_fma_f64 v[132:133], v[76:77], s[18:19], v[134:135]
	v_fma_f64 v[134:135], v[78:79], s[18:19], -v[140:141]
	v_mul_f64 v[142:143], v[66:67], s[40:41]
	v_mul_f64 v[148:149], v[64:65], s[40:41]
	v_add_f64 v[126:127], v[130:131], v[126:127]
	v_add_f64 v[122:123], v[164:165], v[122:123]
	v_mul_f64 v[130:131], v[102:103], s[26:27]
	v_mul_f64 v[140:141], v[100:101], s[26:27]
	v_add_f64 v[120:121], v[132:133], v[120:121]
	v_add_f64 v[128:129], v[134:135], v[128:129]
	v_fma_f64 v[132:133], v[88:89], s[16:17], v[150:151]
	v_fma_f64 v[134:135], v[90:91], s[16:17], -v[158:159]
	v_fma_f64 v[154:155], v[60:61], s[22:23], -v[142:143]
	v_fma_f64 v[158:159], v[62:63], s[22:23], v[148:149]
	v_mul_f64 v[164:165], v[74:75], s[24:25]
	v_mul_f64 v[166:167], v[72:73], s[24:25]
	v_fma_f64 v[150:151], v[96:97], s[22:23], -v[130:131]
	v_fma_f64 v[152:153], v[98:99], s[22:23], v[140:141]
	v_add_f64 v[132:133], v[132:133], v[120:121]
	v_add_f64 v[128:129], v[134:135], v[128:129]
	v_fma_f64 v[130:131], v[96:97], s[22:23], v[130:131]
	v_fma_f64 v[134:135], v[98:99], s[22:23], -v[140:141]
	v_add_f64 v[140:141], v[154:155], v[124:125]
	v_add_f64 v[144:145], v[158:159], v[144:145]
	v_fma_f64 v[154:155], v[68:69], s[18:19], -v[164:165]
	v_fma_f64 v[158:159], v[70:71], s[18:19], v[166:167]
	v_mul_f64 v[168:169], v[82:83], s[38:39]
	s_mov_b32 s39, 0x3fcea1e5
	s_mov_b32 s38, s36
	v_add_f64 v[120:121], v[150:151], v[126:127]
	v_add_f64 v[124:125], v[130:131], v[132:133]
	v_add_f64 v[126:127], v[134:135], v[128:129]
	v_add_f64 v[128:129], v[154:155], v[140:141]
	v_add_f64 v[130:131], v[158:159], v[144:145]
	v_fma_f64 v[132:133], v[76:77], s[2:3], -v[168:169]
	v_fma_f64 v[134:135], v[78:79], s[2:3], v[170:171]
	v_fma_f64 v[140:141], v[60:61], s[22:23], v[142:143]
	v_fma_f64 v[142:143], v[62:63], s[22:23], -v[148:149]
	v_mul_f64 v[144:145], v[94:95], s[38:39]
	v_mul_f64 v[148:149], v[92:93], s[38:39]
	s_mov_b32 s37, 0x3fea55e2
	s_mov_b32 s36, s30
	v_add_f64 v[122:123], v[152:153], v[122:123]
	v_add_f64 v[128:129], v[132:133], v[128:129]
	;; [unrolled: 1-line block ×5, first 2 shown]
	v_fma_f64 v[136:137], v[68:69], s[18:19], v[164:165]
	v_fma_f64 v[140:141], v[70:71], s[18:19], -v[166:167]
	v_fma_f64 v[142:143], v[88:89], s[28:29], -v[144:145]
	v_fma_f64 v[150:151], v[90:91], s[28:29], v[148:149]
	v_mul_f64 v[152:153], v[102:103], s[36:37]
	v_mul_f64 v[156:157], v[64:65], s[34:35]
	;; [unrolled: 1-line block ×4, first 2 shown]
	v_add_f64 v[132:133], v[136:137], v[132:133]
	v_add_f64 v[134:135], v[140:141], v[134:135]
	v_fma_f64 v[136:137], v[76:77], s[2:3], v[168:169]
	v_fma_f64 v[140:141], v[78:79], s[2:3], -v[170:171]
	v_add_f64 v[128:129], v[142:143], v[128:129]
	v_add_f64 v[130:131], v[150:151], v[130:131]
	v_fma_f64 v[142:143], v[96:97], s[16:17], -v[152:153]
	v_mul_f64 v[150:151], v[66:67], s[34:35]
	v_fma_f64 v[158:159], v[98:99], s[16:17], v[154:155]
	v_fma_f64 v[154:155], v[98:99], s[16:17], -v[154:155]
	v_add_f64 v[132:133], v[136:137], v[132:133]
	v_add_f64 v[134:135], v[140:141], v[134:135]
	v_fma_f64 v[136:137], v[88:89], s[28:29], v[144:145]
	v_fma_f64 v[140:141], v[90:91], s[28:29], -v[148:149]
	v_add_f64 v[128:129], v[142:143], v[128:129]
	v_fma_f64 v[142:143], v[60:61], s[2:3], -v[150:151]
	v_fma_f64 v[144:145], v[62:63], s[2:3], v[156:157]
	v_mul_f64 v[148:149], v[74:75], s[30:31]
	v_mul_f64 v[66:67], v[66:67], s[24:25]
	v_add_f64 v[130:131], v[158:159], v[130:131]
	v_add_f64 v[132:133], v[136:137], v[132:133]
	;; [unrolled: 1-line block ×3, first 2 shown]
	v_fma_f64 v[136:137], v[96:97], s[16:17], v[152:153]
	v_add_f64 v[140:141], v[142:143], v[160:161]
	v_add_f64 v[142:143], v[144:145], v[146:147]
	v_fma_f64 v[144:145], v[68:69], s[16:17], -v[148:149]
	v_mul_f64 v[152:153], v[82:83], s[38:39]
	v_fma_f64 v[148:149], v[68:69], s[16:17], v[148:149]
	v_fma_f64 v[146:147], v[70:71], s[16:17], v[164:165]
	v_mul_f64 v[158:159], v[80:81], s[38:39]
	v_add_f64 v[132:133], v[136:137], v[132:133]
	v_fma_f64 v[136:137], v[60:61], s[2:3], v[150:151]
	v_fma_f64 v[150:151], v[62:63], s[2:3], -v[156:157]
	v_add_f64 v[140:141], v[144:145], v[140:141]
	v_fma_f64 v[144:145], v[76:77], s[28:29], -v[152:153]
	v_mul_f64 v[156:157], v[94:95], s[24:25]
	v_add_f64 v[134:135], v[154:155], v[134:135]
	v_mul_f64 v[74:75], v[74:75], s[26:27]
	v_mul_f64 v[72:73], v[72:73], s[26:27]
	v_add_f64 v[136:137], v[136:137], v[162:163]
	v_mul_f64 v[162:163], v[102:103], s[20:21]
	v_add_f64 v[142:143], v[146:147], v[142:143]
	v_add_f64 v[140:141], v[144:145], v[140:141]
	v_fma_f64 v[144:145], v[88:89], s[18:19], -v[156:157]
	v_fma_f64 v[146:147], v[78:79], s[28:29], v[158:159]
	v_mul_f64 v[160:161], v[92:93], s[24:25]
	v_mul_f64 v[82:83], v[82:83], s[36:37]
	v_add_f64 v[136:137], v[148:149], v[136:137]
	v_fma_f64 v[148:149], v[76:77], s[28:29], v[152:153]
	v_mul_f64 v[152:153], v[64:65], s[24:25]
	v_mul_f64 v[80:81], v[80:81], s[36:37]
	v_add_f64 v[140:141], v[144:145], v[140:141]
	v_fma_f64 v[144:145], v[96:97], s[6:7], -v[162:163]
	v_add_f64 v[138:139], v[150:151], v[138:139]
	v_fma_f64 v[150:151], v[70:71], s[16:17], -v[164:165]
	v_add_f64 v[142:143], v[146:147], v[142:143]
	v_fma_f64 v[146:147], v[90:91], s[18:19], v[160:161]
	v_fma_f64 v[154:155], v[62:63], s[18:19], v[152:153]
	v_fma_f64 v[62:63], v[62:63], s[18:19], -v[152:153]
	v_mul_f64 v[94:95], v[94:95], s[20:21]
	v_add_f64 v[64:65], v[144:145], v[140:141]
	v_fma_f64 v[144:145], v[60:61], s[18:19], -v[66:67]
	v_fma_f64 v[60:61], v[60:61], s[18:19], v[66:67]
	v_mul_f64 v[92:93], v[92:93], s[20:21]
	v_add_f64 v[138:139], v[150:151], v[138:139]
	v_fma_f64 v[150:151], v[78:79], s[28:29], -v[158:159]
	v_add_f64 v[62:63], v[62:63], v[110:111]
	v_add_f64 v[142:143], v[146:147], v[142:143]
	v_mul_f64 v[146:147], v[100:101], s[20:21]
	v_add_f64 v[66:67], v[144:145], v[104:105]
	v_add_f64 v[104:105], v[154:155], v[106:107]
	v_fma_f64 v[106:107], v[68:69], s[22:23], -v[74:75]
	v_fma_f64 v[144:145], v[70:71], s[22:23], v[72:73]
	v_add_f64 v[60:61], v[60:61], v[108:109]
	v_fma_f64 v[68:69], v[68:69], s[22:23], v[74:75]
	v_fma_f64 v[70:71], v[70:71], s[22:23], -v[72:73]
	v_fma_f64 v[74:75], v[76:77], s[16:17], -v[82:83]
	v_add_f64 v[136:137], v[148:149], v[136:137]
	v_add_f64 v[138:139], v[150:151], v[138:139]
	;; [unrolled: 1-line block ×4, first 2 shown]
	v_fma_f64 v[104:105], v[78:79], s[16:17], v[80:81]
	v_add_f64 v[60:61], v[68:69], v[60:61]
	v_add_f64 v[62:63], v[70:71], v[62:63]
	v_fma_f64 v[68:69], v[76:77], s[16:17], v[82:83]
	v_fma_f64 v[70:71], v[78:79], s[16:17], -v[80:81]
	v_fma_f64 v[76:77], v[90:91], s[6:7], v[92:93]
	v_add_f64 v[66:67], v[74:75], v[66:67]
	v_fma_f64 v[74:75], v[88:89], s[6:7], -v[94:95]
	v_add_f64 v[72:73], v[104:105], v[72:73]
	v_mul_f64 v[78:79], v[102:103], s[34:35]
	v_mul_f64 v[80:81], v[100:101], s[34:35]
	v_add_f64 v[60:61], v[68:69], v[60:61]
	v_add_f64 v[62:63], v[70:71], v[62:63]
	v_fma_f64 v[68:69], v[88:89], s[6:7], v[94:95]
	v_fma_f64 v[70:71], v[90:91], s[6:7], -v[92:93]
	v_fma_f64 v[148:149], v[88:89], s[18:19], v[156:157]
	v_fma_f64 v[150:151], v[90:91], s[18:19], -v[160:161]
	v_fma_f64 v[140:141], v[98:99], s[6:7], v[146:147]
	v_add_f64 v[74:75], v[74:75], v[66:67]
	v_add_f64 v[72:73], v[76:77], v[72:73]
	v_fma_f64 v[76:77], v[96:97], s[2:3], -v[78:79]
	v_fma_f64 v[90:91], v[98:99], s[2:3], v[80:81]
	v_add_f64 v[92:93], v[68:69], v[60:61]
	v_add_f64 v[94:95], v[70:71], v[62:63]
	v_fma_f64 v[78:79], v[96:97], s[2:3], v[78:79]
	v_fma_f64 v[80:81], v[98:99], s[2:3], -v[80:81]
	v_add_f64 v[136:137], v[148:149], v[136:137]
	v_add_f64 v[138:139], v[150:151], v[138:139]
	v_fma_f64 v[82:83], v[96:97], s[6:7], v[162:163]
	v_fma_f64 v[88:89], v[98:99], s[6:7], -v[146:147]
	v_add_f64 v[66:67], v[140:141], v[142:143]
	v_add_f64 v[68:69], v[76:77], v[74:75]
	;; [unrolled: 1-line block ×3, first 2 shown]
	v_mul_lo_u16_e32 v76, 13, v225
	v_add_f64 v[72:73], v[78:79], v[92:93]
	v_add_f64 v[74:75], v[80:81], v[94:95]
	v_lshl_add_u32 v229, v76, 4, v227
	v_add_f64 v[60:61], v[82:83], v[136:137]
	v_add_f64 v[62:63], v[88:89], v[138:139]
	ds_write_b128 v229, v[52:55]
	ds_write_b128 v229, v[56:59] offset:16
	ds_write_b128 v229, v[112:115] offset:32
	;; [unrolled: 1-line block ×12, first 2 shown]
	s_waitcnt lgkmcnt(0)
	; wave barrier
	s_waitcnt lgkmcnt(0)
	ds_read_b128 v[88:91], v226
	ds_read_b128 v[92:95], v226 offset:416
	ds_read_b128 v[112:115], v226 offset:2704
	;; [unrolled: 1-line block ×11, first 2 shown]
                                        ; implicit-def: $vgpr132_vgpr133
	s_and_saveexec_b64 s[2:3], vcc
	s_cbranch_execz .LBB0_3
; %bb.2:
	ds_read_b128 v[84:87], v226 offset:2496
	ds_read_b128 v[132:135], v226 offset:5200
.LBB0_3:
	s_or_b64 exec, exec, s[2:3]
	v_add_co_u32_e64 v52, s[2:3], -13, v225
	v_addc_co_u32_e64 v53, s[2:3], 0, -1, s[2:3]
	v_cndmask_b32_e64 v138, v53, 0, vcc
	v_cndmask_b32_e32 v137, v52, v225, vcc
	v_lshlrev_b64 v[52:53], 4, v[137:138]
	v_mov_b32_e32 v54, s15
	v_add_co_u32_e64 v52, s[2:3], s14, v52
	v_addc_co_u32_e64 v53, s[2:3], v54, v53, s[2:3]
	v_add_u16_e32 v54, 26, v225
	s_movk_i32 s2, 0x4f
	v_mul_lo_u16_sdwa v55, v54, s2 dst_sel:DWORD dst_unused:UNUSED_PAD src0_sel:BYTE_0 src1_sel:DWORD
	v_lshrrev_b16_e32 v166, 10, v55
	v_mul_lo_u16_e32 v55, 13, v166
	v_sub_u16_e32 v167, v54, v55
	v_mov_b32_e32 v54, 4
	v_lshlrev_b32_sdwa v55, v54, v167 dst_sel:DWORD dst_unused:UNUSED_PAD src0_sel:DWORD src1_sel:BYTE_0
	global_load_dwordx4 v[60:63], v[52:53], off
	global_load_dwordx4 v[56:59], v55, s[14:15]
	v_add_u16_e32 v52, 52, v225
	v_mul_lo_u16_sdwa v53, v52, s2 dst_sel:DWORD dst_unused:UNUSED_PAD src0_sel:BYTE_0 src1_sel:DWORD
	v_lshrrev_b16_e32 v168, 10, v53
	v_mul_lo_u16_e32 v53, 13, v168
	v_sub_u16_e32 v169, v52, v53
	v_add_u16_e32 v53, 0x4e, v225
	v_mul_lo_u16_sdwa v55, v53, s2 dst_sel:DWORD dst_unused:UNUSED_PAD src0_sel:BYTE_0 src1_sel:DWORD
	v_lshrrev_b16_e32 v170, 10, v55
	v_mul_lo_u16_e32 v55, 13, v170
	v_lshlrev_b32_sdwa v52, v54, v169 dst_sel:DWORD dst_unused:UNUSED_PAD src0_sel:DWORD src1_sel:BYTE_0
	v_sub_u16_e32 v171, v53, v55
	v_lshlrev_b32_sdwa v53, v54, v171 dst_sel:DWORD dst_unused:UNUSED_PAD src0_sel:DWORD src1_sel:BYTE_0
	global_load_dwordx4 v[68:71], v52, s[14:15]
	global_load_dwordx4 v[64:67], v53, s[14:15]
	v_add_u16_e32 v52, 0x68, v225
	v_mul_lo_u16_sdwa v53, v52, s2 dst_sel:DWORD dst_unused:UNUSED_PAD src0_sel:BYTE_0 src1_sel:DWORD
	v_lshrrev_b16_e32 v172, 10, v53
	v_mul_lo_u16_e32 v53, 13, v172
	v_sub_u16_e32 v173, v52, v53
	v_add_u16_e32 v53, 0x82, v225
	v_mul_lo_u16_sdwa v55, v53, s2 dst_sel:DWORD dst_unused:UNUSED_PAD src0_sel:BYTE_0 src1_sel:DWORD
	v_lshrrev_b16_e32 v174, 10, v55
	v_mul_lo_u16_e32 v55, 13, v174
	v_lshlrev_b32_sdwa v52, v54, v173 dst_sel:DWORD dst_unused:UNUSED_PAD src0_sel:DWORD src1_sel:BYTE_0
	v_sub_u16_e32 v175, v53, v55
	v_lshlrev_b32_sdwa v53, v54, v175 dst_sel:DWORD dst_unused:UNUSED_PAD src0_sel:DWORD src1_sel:BYTE_0
	global_load_dwordx4 v[80:83], v52, s[14:15]
	global_load_dwordx4 v[76:79], v53, s[14:15]
	v_add_u16_e32 v52, 0x9c, v225
	v_mul_lo_u16_sdwa v53, v52, s2 dst_sel:DWORD dst_unused:UNUSED_PAD src0_sel:BYTE_0 src1_sel:DWORD
	v_lshrrev_b16_e32 v53, 10, v53
	v_mul_lo_u16_e32 v53, 13, v53
	v_sub_u16_e32 v228, v52, v53
	v_and_b32_e32 v136, 0xff, v228
	v_lshlrev_b32_e32 v52, 4, v136
	global_load_dwordx4 v[52:55], v52, s[14:15]
	v_cmp_lt_u16_e64 s[2:3], 12, v225
	s_waitcnt lgkmcnt(0)
	; wave barrier
	s_waitcnt vmcnt(6) lgkmcnt(0)
	v_mul_f64 v[138:139], v[114:115], v[62:63]
	v_mul_f64 v[140:141], v[112:113], v[62:63]
	s_waitcnt vmcnt(5)
	v_mul_f64 v[142:143], v[74:75], v[58:59]
	v_mul_f64 v[144:145], v[72:73], v[58:59]
	v_fma_f64 v[112:113], v[112:113], v[60:61], -v[138:139]
	v_fma_f64 v[114:115], v[114:115], v[60:61], v[140:141]
	v_fma_f64 v[72:73], v[72:73], v[56:57], -v[142:143]
	v_fma_f64 v[74:75], v[74:75], v[56:57], v[144:145]
	s_waitcnt vmcnt(4)
	v_mul_f64 v[146:147], v[122:123], v[70:71]
	v_mul_f64 v[148:149], v[120:121], v[70:71]
	s_waitcnt vmcnt(3)
	v_mul_f64 v[150:151], v[118:119], v[66:67]
	v_mul_f64 v[152:153], v[116:117], v[66:67]
	v_add_f64 v[112:113], v[88:89], -v[112:113]
	v_add_f64 v[114:115], v[90:91], -v[114:115]
	v_fma_f64 v[120:121], v[120:121], v[68:69], -v[146:147]
	v_fma_f64 v[122:123], v[122:123], v[68:69], v[148:149]
	v_fma_f64 v[138:139], v[116:117], v[64:65], -v[150:151]
	v_fma_f64 v[140:141], v[118:119], v[64:65], v[152:153]
	v_fma_f64 v[88:89], v[88:89], 2.0, -v[112:113]
	s_waitcnt vmcnt(2)
	v_mul_f64 v[154:155], v[130:131], v[82:83]
	v_mul_f64 v[156:157], v[128:129], v[82:83]
	s_waitcnt vmcnt(1)
	v_mul_f64 v[158:159], v[126:127], v[78:79]
	v_mul_f64 v[160:161], v[124:125], v[78:79]
	v_fma_f64 v[90:91], v[90:91], 2.0, -v[114:115]
	v_add_f64 v[116:117], v[92:93], -v[72:73]
	v_add_f64 v[118:119], v[94:95], -v[74:75]
	v_add_f64 v[120:121], v[96:97], -v[120:121]
	v_fma_f64 v[128:129], v[128:129], v[80:81], -v[154:155]
	s_waitcnt vmcnt(0)
	v_mul_f64 v[162:163], v[134:135], v[54:55]
	v_mul_f64 v[164:165], v[132:133], v[54:55]
	v_fma_f64 v[130:131], v[130:131], v[80:81], v[156:157]
	v_fma_f64 v[142:143], v[124:125], v[76:77], -v[158:159]
	v_fma_f64 v[144:145], v[126:127], v[76:77], v[160:161]
	v_add_f64 v[122:123], v[98:99], -v[122:123]
	v_add_f64 v[124:125], v[100:101], -v[138:139]
	;; [unrolled: 1-line block ×3, first 2 shown]
	v_fma_f64 v[146:147], v[132:133], v[52:53], -v[162:163]
	v_fma_f64 v[148:149], v[134:135], v[52:53], v[164:165]
	v_add_f64 v[128:129], v[104:105], -v[128:129]
	v_add_f64 v[130:131], v[106:107], -v[130:131]
	v_add_f64 v[132:133], v[108:109], -v[142:143]
	v_add_f64 v[134:135], v[110:111], -v[144:145]
	v_cndmask_b32_e64 v138, 0, 26, s[2:3]
	v_add_u32_e32 v137, v137, v138
	v_lshl_add_u32 v230, v137, 4, v227
	ds_write_b128 v230, v[88:91]
	ds_write_b128 v230, v[112:115] offset:208
	v_mad_legacy_u16 v88, v166, 26, v167
	v_and_b32_e32 v88, 0xff, v88
	v_lshl_add_u32 v231, v88, 4, v227
	v_mul_u32_u24_e32 v88, 26, v168
	v_add_f64 v[72:73], v[84:85], -v[146:147]
	v_fma_f64 v[92:93], v[92:93], 2.0, -v[116:117]
	v_fma_f64 v[94:95], v[94:95], 2.0, -v[118:119]
	;; [unrolled: 1-line block ×10, first 2 shown]
	v_add_f64 v[74:75], v[86:87], -v[148:149]
	v_add_u32_sdwa v88, v88, v169 dst_sel:DWORD dst_unused:UNUSED_PAD src0_sel:DWORD src1_sel:BYTE_0
	v_lshl_add_u32 v232, v88, 4, v227
	v_mul_u32_u24_e32 v88, 26, v170
	v_add_u32_sdwa v88, v88, v171 dst_sel:DWORD dst_unused:UNUSED_PAD src0_sel:DWORD src1_sel:BYTE_0
	v_lshl_add_u32 v233, v88, 4, v227
	v_mul_u32_u24_e32 v88, 26, v172
	;; [unrolled: 3-line block ×3, first 2 shown]
	v_add_u32_sdwa v88, v88, v175 dst_sel:DWORD dst_unused:UNUSED_PAD src0_sel:DWORD src1_sel:BYTE_0
	v_lshl_add_u32 v235, v88, 4, v227
	ds_write_b128 v231, v[92:95]
	ds_write_b128 v231, v[116:119] offset:208
	ds_write_b128 v232, v[96:99]
	ds_write_b128 v232, v[120:123] offset:208
	;; [unrolled: 2-line block ×5, first 2 shown]
	s_and_saveexec_b64 s[2:3], vcc
	s_cbranch_execz .LBB0_5
; %bb.4:
	v_fma_f64 v[86:87], v[86:87], 2.0, -v[74:75]
	v_fma_f64 v[84:85], v[84:85], 2.0, -v[72:73]
	v_lshl_add_u32 v88, v136, 4, v227
	ds_write_b128 v88, v[84:87] offset:4992
	ds_write_b128 v88, v[72:75] offset:5200
.LBB0_5:
	s_or_b64 exec, exec, s[2:3]
	v_mov_b32_e32 v84, s13
	v_addc_co_u32_e64 v237, s[0:1], 0, v84, s[0:1]
	v_mov_b32_e32 v93, s15
	s_movk_i32 s0, 0xc0
	v_mov_b32_e32 v92, s14
	v_mad_u64_u32 v[160:161], s[0:1], v225, s0, v[92:93]
	s_waitcnt lgkmcnt(0)
	; wave barrier
	s_waitcnt lgkmcnt(0)
	ds_read_b128 v[136:139], v226
	ds_read_b128 v[84:87], v226 offset:416
	ds_read_b128 v[88:91], v226 offset:832
	;; [unrolled: 1-line block ×12, first 2 shown]
	global_load_dwordx4 v[92:95], v[160:161], off offset:256
	global_load_dwordx4 v[96:99], v[160:161], off offset:240
	;; [unrolled: 1-line block ×4, first 2 shown]
	s_mov_b32 s20, 0x4267c47c
	s_mov_b32 s21, 0xbfddbe06
	;; [unrolled: 1-line block ×35, first 2 shown]
	s_movk_i32 s0, 0x1520
	s_waitcnt vmcnt(0) lgkmcnt(11)
	v_mul_f64 v[124:125], v[86:87], v[114:115]
	v_fma_f64 v[193:194], v[84:85], v[112:113], -v[124:125]
	v_mul_f64 v[84:85], v[84:85], v[114:115]
	v_fma_f64 v[195:196], v[86:87], v[112:113], v[84:85]
	s_waitcnt lgkmcnt(10)
	v_mul_f64 v[84:85], v[90:91], v[106:107]
	v_fma_f64 v[172:173], v[88:89], v[104:105], -v[84:85]
	v_mul_f64 v[84:85], v[88:89], v[106:107]
	v_fma_f64 v[174:175], v[90:91], v[104:105], v[84:85]
	s_waitcnt lgkmcnt(9)
	;; [unrolled: 5-line block ×3, first 2 shown]
	v_mul_f64 v[84:85], v[110:111], v[94:95]
	v_fma_f64 v[158:159], v[108:109], v[92:93], -v[84:85]
	v_mul_f64 v[84:85], v[108:109], v[94:95]
	v_fma_f64 v[156:157], v[110:111], v[92:93], v[84:85]
	global_load_dwordx4 v[84:87], v[160:161], off offset:320
	global_load_dwordx4 v[88:91], v[160:161], off offset:304
	;; [unrolled: 1-line block ×4, first 2 shown]
	s_waitcnt vmcnt(0) lgkmcnt(7)
	v_mul_f64 v[108:109], v[118:119], v[126:127]
	v_fma_f64 v[152:153], v[116:117], v[124:125], -v[108:109]
	v_mul_f64 v[108:109], v[116:117], v[126:127]
	v_fma_f64 v[148:149], v[118:119], v[124:125], v[108:109]
	s_waitcnt lgkmcnt(6)
	v_mul_f64 v[108:109], v[122:123], v[102:103]
	v_fma_f64 v[144:145], v[120:121], v[100:101], -v[108:109]
	v_mul_f64 v[108:109], v[120:121], v[102:103]
	v_fma_f64 v[140:141], v[122:123], v[100:101], v[108:109]
	s_waitcnt lgkmcnt(5)
	;; [unrolled: 5-line block ×3, first 2 shown]
	v_mul_f64 v[108:109], v[134:135], v[86:87]
	v_fma_f64 v[154:155], v[132:133], v[84:85], -v[108:109]
	v_mul_f64 v[108:109], v[132:133], v[86:87]
	v_fma_f64 v[150:151], v[134:135], v[84:85], v[108:109]
	global_load_dwordx4 v[120:123], v[160:161], off offset:384
	global_load_dwordx4 v[108:111], v[160:161], off offset:368
	;; [unrolled: 1-line block ×4, first 2 shown]
	v_add_f64 v[134:135], v[138:139], v[195:196]
	v_add_f64 v[134:135], v[134:135], v[174:175]
	v_add_f64 v[134:135], v[134:135], v[164:165]
	v_add_f64 v[134:135], v[134:135], v[156:157]
	v_add_f64 v[134:135], v[134:135], v[148:149]
	v_add_f64 v[134:135], v[134:135], v[140:141]
	v_add_f64 v[134:135], v[134:135], v[142:143]
	v_add_f64 v[134:135], v[134:135], v[150:151]
	s_waitcnt vmcnt(0) lgkmcnt(3)
	v_mul_f64 v[132:133], v[170:171], v[130:131]
	v_fma_f64 v[162:163], v[168:169], v[128:129], -v[132:133]
	v_mul_f64 v[132:133], v[168:169], v[130:131]
	v_fma_f64 v[160:161], v[170:171], v[128:129], v[132:133]
	s_waitcnt lgkmcnt(2)
	v_mul_f64 v[132:133], v[178:179], v[118:119]
	v_add_f64 v[134:135], v[134:135], v[160:161]
	v_fma_f64 v[170:171], v[176:177], v[116:117], -v[132:133]
	v_mul_f64 v[132:133], v[176:177], v[118:119]
	v_fma_f64 v[168:169], v[178:179], v[116:117], v[132:133]
	s_waitcnt lgkmcnt(1)
	v_mul_f64 v[132:133], v[182:183], v[110:111]
	v_add_f64 v[134:135], v[134:135], v[168:169]
	;; [unrolled: 6-line block ×3, first 2 shown]
	v_fma_f64 v[176:177], v[185:186], v[120:121], -v[132:133]
	v_mul_f64 v[132:133], v[185:186], v[122:123]
	v_add_f64 v[238:239], v[193:194], v[176:177]
	v_fma_f64 v[178:179], v[187:188], v[120:121], v[132:133]
	v_add_f64 v[132:133], v[136:137], v[193:194]
	v_add_f64 v[209:210], v[193:194], -v[176:177]
	v_add_f64 v[207:208], v[195:196], -v[178:179]
	v_add_f64 v[132:133], v[132:133], v[172:173]
	v_add_f64 v[134:135], v[134:135], v[178:179]
	;; [unrolled: 1-line block ×3, first 2 shown]
	v_mul_f64 v[244:245], v[209:210], s[28:29]
	v_mul_f64 v[242:243], v[207:208], s[28:29]
	v_add_f64 v[132:133], v[132:133], v[166:167]
	v_add_f64 v[132:133], v[132:133], v[158:159]
	;; [unrolled: 1-line block ×10, first 2 shown]
	v_mul_f64 v[176:177], v[207:208], s[20:21]
	v_fma_f64 v[178:179], v[238:239], s[22:23], -v[176:177]
	v_fma_f64 v[176:177], v[238:239], s[22:23], v[176:177]
	v_add_f64 v[223:224], v[136:137], v[178:179]
	v_mul_f64 v[178:179], v[209:210], s[20:21]
	v_add_f64 v[201:202], v[136:137], v[176:177]
	v_fma_f64 v[176:177], v[240:241], s[22:23], -v[178:179]
	v_fma_f64 v[180:181], v[240:241], s[22:23], v[178:179]
	v_add_f64 v[203:204], v[138:139], v[176:177]
	v_mul_f64 v[176:177], v[207:208], s[14:15]
	v_add_f64 v[199:200], v[138:139], v[180:181]
	;; [unrolled: 5-line block ×7, first 2 shown]
	v_fma_f64 v[180:181], v[240:241], s[18:19], v[178:179]
	v_fma_f64 v[176:177], v[240:241], s[18:19], -v[178:179]
	v_mul_f64 v[178:179], v[207:208], s[24:25]
	v_fma_f64 v[207:208], v[238:239], s[30:31], -v[242:243]
	v_add_f64 v[193:194], v[138:139], v[180:181]
	v_add_f64 v[197:198], v[138:139], v[176:177]
	v_fma_f64 v[176:177], v[238:239], s[26:27], -v[178:179]
	v_mul_f64 v[180:181], v[209:210], s[24:25]
	v_fma_f64 v[178:179], v[238:239], s[26:27], v[178:179]
	v_fma_f64 v[238:239], v[238:239], s[30:31], v[242:243]
	v_add_f64 v[207:208], v[136:137], v[207:208]
	v_fma_f64 v[209:210], v[240:241], s[30:31], v[244:245]
	v_add_f64 v[219:220], v[136:137], v[176:177]
	;; [unrolled: 2-line block ×3, first 2 shown]
	v_fma_f64 v[180:181], v[240:241], s[26:27], -v[180:181]
	v_add_f64 v[136:137], v[136:137], v[238:239]
	v_fma_f64 v[238:239], v[240:241], s[30:31], -v[244:245]
	v_add_f64 v[240:241], v[174:175], v[191:192]
	v_add_f64 v[174:175], v[174:175], -v[191:192]
	v_add_f64 v[209:210], v[138:139], v[209:210]
	v_add_f64 v[176:177], v[138:139], v[176:177]
	;; [unrolled: 1-line block ×5, first 2 shown]
	v_mul_f64 v[191:192], v[174:175], s[14:15]
	v_add_f64 v[189:190], v[172:173], -v[189:190]
	v_fma_f64 v[172:173], v[238:239], s[12:13], -v[191:192]
	v_fma_f64 v[191:192], v[238:239], s[12:13], v[191:192]
	v_add_f64 v[172:173], v[172:173], v[223:224]
	v_mul_f64 v[223:224], v[189:190], s[14:15]
	v_add_f64 v[191:192], v[191:192], v[201:202]
	v_fma_f64 v[201:202], v[240:241], s[12:13], -v[223:224]
	v_fma_f64 v[242:243], v[240:241], s[12:13], v[223:224]
	v_add_f64 v[201:202], v[201:202], v[203:204]
	v_mul_f64 v[203:204], v[174:175], s[16:17]
	v_add_f64 v[199:200], v[242:243], v[199:200]
	;; [unrolled: 5-line block ×7, first 2 shown]
	v_fma_f64 v[215:216], v[240:241], s[26:27], -v[223:224]
	v_fma_f64 v[242:243], v[240:241], s[26:27], v[223:224]
	v_add_f64 v[197:198], v[215:216], v[197:198]
	v_mul_f64 v[215:216], v[174:175], s[34:35]
	v_mul_f64 v[174:175], v[174:175], s[38:39]
	v_add_f64 v[193:194], v[242:243], v[193:194]
	v_fma_f64 v[223:224], v[238:239], s[6:7], -v[215:216]
	v_fma_f64 v[215:216], v[238:239], s[6:7], v[215:216]
	v_add_f64 v[219:220], v[223:224], v[219:220]
	v_mul_f64 v[223:224], v[189:190], s[34:35]
	v_add_f64 v[178:179], v[215:216], v[178:179]
	v_mul_f64 v[189:190], v[189:190], s[38:39]
	v_fma_f64 v[215:216], v[240:241], s[6:7], -v[223:224]
	v_fma_f64 v[242:243], v[240:241], s[6:7], v[223:224]
	v_add_f64 v[180:181], v[215:216], v[180:181]
	v_fma_f64 v[215:216], v[238:239], s[22:23], -v[174:175]
	v_fma_f64 v[174:175], v[238:239], s[22:23], v[174:175]
	v_add_f64 v[176:177], v[242:243], v[176:177]
	v_add_f64 v[207:208], v[215:216], v[207:208]
	v_fma_f64 v[215:216], v[240:241], s[22:23], v[189:190]
	v_add_f64 v[136:137], v[174:175], v[136:137]
	v_fma_f64 v[174:175], v[240:241], s[22:23], -v[189:190]
	v_add_f64 v[189:190], v[164:165], v[168:169]
	v_add_f64 v[164:165], v[164:165], -v[168:169]
	v_add_f64 v[209:210], v[215:216], v[209:210]
	v_add_f64 v[138:139], v[174:175], v[138:139]
	;; [unrolled: 1-line block ×3, first 2 shown]
	v_mul_f64 v[168:169], v[164:165], s[2:3]
	v_add_f64 v[166:167], v[166:167], -v[170:171]
	v_fma_f64 v[170:171], v[174:175], s[6:7], -v[168:169]
	v_fma_f64 v[168:169], v[174:175], s[6:7], v[168:169]
	v_add_f64 v[170:171], v[170:171], v[172:173]
	v_mul_f64 v[172:173], v[166:167], s[2:3]
	v_add_f64 v[168:169], v[168:169], v[191:192]
	v_mul_f64 v[191:192], v[164:165], s[28:29]
	v_fma_f64 v[215:216], v[189:190], s[6:7], v[172:173]
	v_fma_f64 v[172:173], v[189:190], s[6:7], -v[172:173]
	v_add_f64 v[199:200], v[215:216], v[199:200]
	v_add_f64 v[172:173], v[172:173], v[201:202]
	v_fma_f64 v[201:202], v[174:175], s[30:31], -v[191:192]
	v_mul_f64 v[215:216], v[166:167], s[28:29]
	v_fma_f64 v[191:192], v[174:175], s[30:31], v[191:192]
	v_add_f64 v[201:202], v[201:202], v[217:218]
	v_fma_f64 v[217:218], v[189:190], s[30:31], v[215:216]
	v_add_f64 v[191:192], v[191:192], v[203:204]
	v_fma_f64 v[203:204], v[189:190], s[30:31], -v[215:216]
	v_add_f64 v[211:212], v[217:218], v[211:212]
	v_mul_f64 v[217:218], v[166:167], s[40:41]
	v_add_f64 v[203:204], v[203:204], v[213:214]
	v_mul_f64 v[213:214], v[164:165], s[40:41]
	v_fma_f64 v[215:216], v[174:175], s[18:19], -v[213:214]
	v_fma_f64 v[213:214], v[174:175], s[18:19], v[213:214]
	v_add_f64 v[215:216], v[215:216], v[221:222]
	v_add_f64 v[185:186], v[213:214], v[185:186]
	v_fma_f64 v[213:214], v[189:190], s[18:19], -v[217:218]
	v_fma_f64 v[221:222], v[189:190], s[18:19], v[217:218]
	v_add_f64 v[187:188], v[213:214], v[187:188]
	v_mul_f64 v[213:214], v[164:165], s[38:39]
	v_add_f64 v[182:183], v[221:222], v[182:183]
	v_fma_f64 v[217:218], v[174:175], s[22:23], -v[213:214]
	v_fma_f64 v[213:214], v[174:175], s[22:23], v[213:214]
	v_add_f64 v[205:206], v[217:218], v[205:206]
	v_mul_f64 v[217:218], v[166:167], s[38:39]
	;; [unrolled: 5-line block ×3, first 2 shown]
	v_mul_f64 v[164:165], v[164:165], s[24:25]
	v_add_f64 v[193:194], v[221:222], v[193:194]
	v_fma_f64 v[217:218], v[174:175], s[12:13], -v[213:214]
	v_fma_f64 v[213:214], v[174:175], s[12:13], v[213:214]
	v_add_f64 v[217:218], v[217:218], v[219:220]
	v_mul_f64 v[219:220], v[166:167], s[14:15]
	v_add_f64 v[178:179], v[213:214], v[178:179]
	v_mul_f64 v[166:167], v[166:167], s[24:25]
	v_fma_f64 v[213:214], v[189:190], s[12:13], -v[219:220]
	v_fma_f64 v[221:222], v[189:190], s[12:13], v[219:220]
	v_add_f64 v[180:181], v[213:214], v[180:181]
	v_fma_f64 v[213:214], v[174:175], s[26:27], -v[164:165]
	v_fma_f64 v[164:165], v[174:175], s[26:27], v[164:165]
	v_add_f64 v[176:177], v[221:222], v[176:177]
	v_add_f64 v[207:208], v[213:214], v[207:208]
	v_fma_f64 v[213:214], v[189:190], s[26:27], v[166:167]
	v_add_f64 v[136:137], v[164:165], v[136:137]
	v_fma_f64 v[164:165], v[189:190], s[26:27], -v[166:167]
	v_add_f64 v[166:167], v[156:157], v[160:161]
	v_add_f64 v[156:157], v[156:157], -v[160:161]
	v_add_f64 v[209:210], v[213:214], v[209:210]
	v_add_f64 v[138:139], v[164:165], v[138:139]
	;; [unrolled: 1-line block ×3, first 2 shown]
	v_mul_f64 v[160:161], v[156:157], s[16:17]
	v_add_f64 v[158:159], v[158:159], -v[162:163]
	v_fma_f64 v[162:163], v[164:165], s[18:19], -v[160:161]
	v_fma_f64 v[160:161], v[164:165], s[18:19], v[160:161]
	v_mul_f64 v[189:190], v[158:159], s[36:37]
	v_add_f64 v[162:163], v[162:163], v[170:171]
	v_mul_f64 v[170:171], v[158:159], s[16:17]
	v_add_f64 v[160:161], v[160:161], v[168:169]
	v_fma_f64 v[174:175], v[166:167], s[18:19], v[170:171]
	v_fma_f64 v[168:169], v[166:167], s[18:19], -v[170:171]
	v_mul_f64 v[170:171], v[156:157], s[36:37]
	v_add_f64 v[174:175], v[174:175], v[199:200]
	v_add_f64 v[168:169], v[168:169], v[172:173]
	v_fma_f64 v[172:173], v[164:165], s[26:27], -v[170:171]
	v_fma_f64 v[170:171], v[164:165], s[26:27], v[170:171]
	v_fma_f64 v[199:200], v[166:167], s[26:27], v[189:190]
	v_fma_f64 v[189:190], v[166:167], s[26:27], -v[189:190]
	v_add_f64 v[172:173], v[172:173], v[201:202]
	v_add_f64 v[170:171], v[170:171], v[191:192]
	v_mul_f64 v[191:192], v[156:157], s[38:39]
	v_add_f64 v[189:190], v[189:190], v[203:204]
	v_mul_f64 v[203:204], v[158:159], s[38:39]
	v_add_f64 v[199:200], v[199:200], v[211:212]
	v_fma_f64 v[201:202], v[164:165], s[22:23], -v[191:192]
	v_fma_f64 v[191:192], v[164:165], s[22:23], v[191:192]
	v_fma_f64 v[211:212], v[166:167], s[22:23], v[203:204]
	v_add_f64 v[201:202], v[201:202], v[215:216]
	v_add_f64 v[185:186], v[191:192], v[185:186]
	v_fma_f64 v[191:192], v[166:167], s[22:23], -v[203:204]
	v_add_f64 v[182:183], v[211:212], v[182:183]
	v_add_f64 v[187:188], v[191:192], v[187:188]
	v_mul_f64 v[191:192], v[156:157], s[2:3]
	v_fma_f64 v[203:204], v[164:165], s[6:7], -v[191:192]
	v_fma_f64 v[191:192], v[164:165], s[6:7], v[191:192]
	v_add_f64 v[203:204], v[203:204], v[205:206]
	v_mul_f64 v[205:206], v[158:159], s[2:3]
	v_add_f64 v[191:192], v[191:192], v[195:196]
	v_fma_f64 v[195:196], v[166:167], s[6:7], -v[205:206]
	v_fma_f64 v[211:212], v[166:167], s[6:7], v[205:206]
	v_add_f64 v[195:196], v[195:196], v[197:198]
	v_mul_f64 v[197:198], v[156:157], s[44:45]
	v_add_f64 v[193:194], v[211:212], v[193:194]
	v_mul_f64 v[211:212], v[158:159], s[44:45]
	v_mul_f64 v[156:157], v[156:157], s[42:43]
	v_mul_f64 v[158:159], v[158:159], s[42:43]
	v_fma_f64 v[205:206], v[164:165], s[30:31], -v[197:198]
	v_fma_f64 v[197:198], v[164:165], s[30:31], v[197:198]
	v_fma_f64 v[213:214], v[166:167], s[30:31], v[211:212]
	v_add_f64 v[205:206], v[205:206], v[217:218]
	v_add_f64 v[178:179], v[197:198], v[178:179]
	v_fma_f64 v[197:198], v[166:167], s[30:31], -v[211:212]
	v_add_f64 v[211:212], v[140:141], -v[142:143]
	v_add_f64 v[176:177], v[213:214], v[176:177]
	v_add_f64 v[180:181], v[197:198], v[180:181]
	v_fma_f64 v[197:198], v[164:165], s[12:13], -v[156:157]
	v_fma_f64 v[156:157], v[164:165], s[12:13], v[156:157]
	v_add_f64 v[197:198], v[197:198], v[207:208]
	v_fma_f64 v[207:208], v[166:167], s[12:13], v[158:159]
	v_add_f64 v[136:137], v[156:157], v[136:137]
	v_fma_f64 v[156:157], v[166:167], s[12:13], -v[158:159]
	v_add_f64 v[158:159], v[148:149], v[150:151]
	v_add_f64 v[148:149], v[148:149], -v[150:151]
	v_add_f64 v[207:208], v[207:208], v[209:210]
	v_add_f64 v[209:210], v[144:145], -v[146:147]
	v_add_f64 v[138:139], v[156:157], v[138:139]
	v_add_f64 v[156:157], v[152:153], v[154:155]
	v_mul_f64 v[150:151], v[148:149], s[24:25]
	v_add_f64 v[152:153], v[152:153], -v[154:155]
	v_fma_f64 v[154:155], v[156:157], s[26:27], -v[150:151]
	v_fma_f64 v[150:151], v[156:157], s[26:27], v[150:151]
	v_add_f64 v[154:155], v[154:155], v[162:163]
	v_mul_f64 v[162:163], v[152:153], s[24:25]
	v_add_f64 v[150:151], v[150:151], v[160:161]
	v_fma_f64 v[164:165], v[158:159], s[26:27], v[162:163]
	v_fma_f64 v[160:161], v[158:159], s[26:27], -v[162:163]
	v_mul_f64 v[162:163], v[148:149], s[34:35]
	v_add_f64 v[164:165], v[164:165], v[174:175]
	v_add_f64 v[160:161], v[160:161], v[168:169]
	v_fma_f64 v[166:167], v[156:157], s[6:7], -v[162:163]
	v_mul_f64 v[168:169], v[152:153], s[34:35]
	v_fma_f64 v[162:163], v[156:157], s[6:7], v[162:163]
	v_add_f64 v[166:167], v[166:167], v[172:173]
	v_fma_f64 v[172:173], v[158:159], s[6:7], v[168:169]
	v_add_f64 v[162:163], v[162:163], v[170:171]
	v_fma_f64 v[168:169], v[158:159], s[6:7], -v[168:169]
	v_mul_f64 v[170:171], v[148:149], s[14:15]
	v_add_f64 v[172:173], v[172:173], v[199:200]
	v_add_f64 v[168:169], v[168:169], v[189:190]
	v_fma_f64 v[174:175], v[156:157], s[12:13], -v[170:171]
	v_mul_f64 v[189:190], v[152:153], s[14:15]
	v_fma_f64 v[170:171], v[156:157], s[12:13], v[170:171]
	v_add_f64 v[174:175], v[174:175], v[201:202]
	v_fma_f64 v[199:200], v[158:159], s[12:13], v[189:190]
	v_add_f64 v[170:171], v[170:171], v[185:186]
	v_fma_f64 v[185:186], v[158:159], s[12:13], -v[189:190]
	v_add_f64 v[182:183], v[199:200], v[182:183]
	v_mul_f64 v[199:200], v[152:153], s[44:45]
	v_add_f64 v[185:186], v[185:186], v[187:188]
	v_mul_f64 v[187:188], v[148:149], s[44:45]
	v_fma_f64 v[201:202], v[158:159], s[30:31], v[199:200]
	v_fma_f64 v[189:190], v[156:157], s[30:31], -v[187:188]
	v_fma_f64 v[187:188], v[156:157], s[30:31], v[187:188]
	v_add_f64 v[193:194], v[201:202], v[193:194]
	v_mul_f64 v[201:202], v[152:153], s[38:39]
	v_mul_f64 v[152:153], v[152:153], s[16:17]
	v_add_f64 v[187:188], v[187:188], v[191:192]
	v_fma_f64 v[191:192], v[158:159], s[30:31], -v[199:200]
	v_add_f64 v[189:190], v[189:190], v[203:204]
	v_fma_f64 v[203:204], v[158:159], s[22:23], v[201:202]
	v_add_f64 v[191:192], v[191:192], v[195:196]
	v_mul_f64 v[195:196], v[148:149], s[38:39]
	v_mul_f64 v[148:149], v[148:149], s[16:17]
	v_add_f64 v[176:177], v[203:204], v[176:177]
	v_fma_f64 v[199:200], v[156:157], s[22:23], -v[195:196]
	v_fma_f64 v[195:196], v[156:157], s[22:23], v[195:196]
	v_add_f64 v[199:200], v[199:200], v[205:206]
	v_add_f64 v[178:179], v[195:196], v[178:179]
	v_fma_f64 v[195:196], v[158:159], s[22:23], -v[201:202]
	v_add_f64 v[205:206], v[144:145], v[146:147]
	v_add_f64 v[180:181], v[195:196], v[180:181]
	v_fma_f64 v[195:196], v[156:157], s[18:19], -v[148:149]
	v_fma_f64 v[148:149], v[156:157], s[18:19], v[148:149]
	v_mul_f64 v[156:157], v[211:212], s[24:25]
	v_add_f64 v[195:196], v[195:196], v[197:198]
	v_fma_f64 v[197:198], v[158:159], s[18:19], v[152:153]
	v_add_f64 v[201:202], v[148:149], v[136:137]
	v_fma_f64 v[136:137], v[158:159], s[18:19], -v[152:153]
	v_fma_f64 v[152:153], v[205:206], s[26:27], -v[156:157]
	v_mul_f64 v[148:149], v[211:212], s[38:39]
	v_mul_f64 v[158:159], v[209:210], s[24:25]
	v_fma_f64 v[156:157], v[205:206], s[26:27], v[156:157]
	v_add_f64 v[197:198], v[197:198], v[207:208]
	v_add_f64 v[207:208], v[140:141], v[142:143]
	v_mul_f64 v[140:141], v[211:212], s[28:29]
	v_add_f64 v[203:204], v[136:137], v[138:139]
	v_mul_f64 v[142:143], v[209:210], s[28:29]
	;; [unrolled: 2-line block ×3, first 2 shown]
	v_fma_f64 v[144:145], v[205:206], s[22:23], -v[148:149]
	v_add_f64 v[156:157], v[156:157], v[170:171]
	v_fma_f64 v[148:149], v[205:206], s[22:23], v[148:149]
	v_fma_f64 v[136:137], v[205:206], s[30:31], -v[140:141]
	v_fma_f64 v[140:141], v[205:206], s[30:31], v[140:141]
	v_fma_f64 v[138:139], v[207:208], s[30:31], v[142:143]
	v_fma_f64 v[142:143], v[207:208], s[30:31], -v[142:143]
	v_fma_f64 v[170:171], v[207:208], s[18:19], v[174:175]
	v_fma_f64 v[174:175], v[207:208], s[18:19], -v[174:175]
	v_add_f64 v[144:145], v[144:145], v[166:167]
	v_mul_f64 v[166:167], v[209:210], s[42:43]
	v_add_f64 v[136:137], v[136:137], v[154:155]
	v_add_f64 v[140:141], v[140:141], v[150:151]
	v_mul_f64 v[150:151], v[209:210], s[38:39]
	v_fma_f64 v[154:155], v[207:208], s[26:27], v[158:159]
	v_add_f64 v[138:139], v[138:139], v[164:165]
	v_mul_f64 v[164:165], v[211:212], s[42:43]
	v_add_f64 v[174:175], v[174:175], v[180:181]
	v_mul_f64 v[180:181], v[211:212], s[34:35]
	v_add_f64 v[142:143], v[142:143], v[160:161]
	v_add_f64 v[148:149], v[148:149], v[162:163]
	v_fma_f64 v[146:147], v[207:208], s[22:23], v[150:151]
	v_fma_f64 v[150:151], v[207:208], s[22:23], -v[150:151]
	v_add_f64 v[154:155], v[154:155], v[182:183]
	v_mul_f64 v[182:183], v[209:210], s[34:35]
	v_fma_f64 v[160:161], v[205:206], s[12:13], -v[164:165]
	v_fma_f64 v[162:163], v[207:208], s[12:13], v[166:167]
	v_add_f64 v[170:171], v[170:171], v[176:177]
	v_fma_f64 v[176:177], v[205:206], s[6:7], -v[180:181]
	v_add_f64 v[146:147], v[146:147], v[172:173]
	v_mul_f64 v[172:173], v[211:212], s[16:17]
	v_add_f64 v[150:151], v[150:151], v[168:169]
	v_fma_f64 v[180:181], v[205:206], s[6:7], v[180:181]
	v_fma_f64 v[158:159], v[207:208], s[26:27], -v[158:159]
	v_fma_f64 v[164:165], v[205:206], s[12:13], v[164:165]
	v_fma_f64 v[166:167], v[207:208], s[12:13], -v[166:167]
	v_add_f64 v[160:161], v[160:161], v[189:190]
	v_add_f64 v[162:163], v[162:163], v[193:194]
	v_fma_f64 v[168:169], v[205:206], s[18:19], -v[172:173]
	v_fma_f64 v[172:173], v[205:206], s[18:19], v[172:173]
	v_add_f64 v[176:177], v[176:177], v[195:196]
	v_add_f64 v[180:181], v[180:181], v[201:202]
	;; [unrolled: 1-line block ×7, first 2 shown]
	v_fma_f64 v[178:179], v[207:208], s[6:7], v[182:183]
	v_fma_f64 v[182:183], v[207:208], s[6:7], -v[182:183]
	v_add_f64 v[178:179], v[178:179], v[197:198]
	v_add_f64 v[182:183], v[182:183], v[203:204]
	ds_write_b128 v226, v[132:135]
	ds_write_b128 v226, v[136:139] offset:416
	ds_write_b128 v226, v[144:147] offset:832
	;; [unrolled: 1-line block ×12, first 2 shown]
	v_add_co_u32_e64 v144, s[0:1], s0, v236
	v_addc_co_u32_e64 v145, s[0:1], 0, v237, s[0:1]
	s_movk_i32 s0, 0x1000
	v_add_co_u32_e64 v136, s[0:1], s0, v236
	v_addc_co_u32_e64 v137, s[0:1], 0, v237, s[0:1]
	s_waitcnt lgkmcnt(0)
	; wave barrier
	s_waitcnt lgkmcnt(0)
	global_load_dwordx4 v[136:139], v[136:137], off offset:1312
	ds_read_b128 v[132:135], v226
	s_movk_i32 s0, 0x2000
	s_waitcnt vmcnt(0) lgkmcnt(0)
	v_mul_f64 v[140:141], v[134:135], v[138:139]
	v_fma_f64 v[140:141], v[132:133], v[136:137], -v[140:141]
	v_mul_f64 v[132:133], v[132:133], v[138:139]
	v_fma_f64 v[142:143], v[134:135], v[136:137], v[132:133]
	global_load_dwordx4 v[136:139], v[144:145], off offset:416
	ds_read_b128 v[132:135], v226 offset:416
	ds_write_b128 v226, v[140:143]
	s_waitcnt vmcnt(0) lgkmcnt(1)
	v_mul_f64 v[140:141], v[134:135], v[138:139]
	v_fma_f64 v[140:141], v[132:133], v[136:137], -v[140:141]
	v_mul_f64 v[132:133], v[132:133], v[138:139]
	v_fma_f64 v[142:143], v[134:135], v[136:137], v[132:133]
	global_load_dwordx4 v[136:139], v[144:145], off offset:832
	ds_read_b128 v[132:135], v226 offset:832
	ds_write_b128 v226, v[140:143] offset:416
	s_waitcnt vmcnt(0) lgkmcnt(1)
	v_mul_f64 v[140:141], v[134:135], v[138:139]
	v_fma_f64 v[140:141], v[132:133], v[136:137], -v[140:141]
	v_mul_f64 v[132:133], v[132:133], v[138:139]
	v_fma_f64 v[142:143], v[134:135], v[136:137], v[132:133]
	global_load_dwordx4 v[136:139], v[144:145], off offset:1248
	ds_read_b128 v[132:135], v226 offset:1248
	ds_write_b128 v226, v[140:143] offset:832
	;; [unrolled: 8-line block ×7, first 2 shown]
	s_waitcnt vmcnt(0) lgkmcnt(1)
	v_mul_f64 v[140:141], v[134:135], v[138:139]
	v_fma_f64 v[140:141], v[132:133], v[136:137], -v[140:141]
	v_mul_f64 v[132:133], v[132:133], v[138:139]
	v_fma_f64 v[142:143], v[134:135], v[136:137], v[132:133]
	global_load_dwordx4 v[136:139], v[144:145], off offset:3744
	ds_read_b128 v[132:135], v226 offset:3744
	v_add_co_u32_e64 v144, s[0:1], s0, v236
	v_addc_co_u32_e64 v145, s[0:1], 0, v237, s[0:1]
	ds_write_b128 v226, v[140:143] offset:3328
	s_waitcnt vmcnt(0) lgkmcnt(1)
	v_mul_f64 v[140:141], v[134:135], v[138:139]
	v_fma_f64 v[140:141], v[132:133], v[136:137], -v[140:141]
	v_mul_f64 v[132:133], v[132:133], v[138:139]
	v_fma_f64 v[142:143], v[134:135], v[136:137], v[132:133]
	global_load_dwordx4 v[136:139], v[144:145], off offset:1376
	ds_read_b128 v[132:135], v226 offset:4160
	ds_write_b128 v226, v[140:143] offset:3744
	s_waitcnt vmcnt(0) lgkmcnt(1)
	v_mul_f64 v[140:141], v[134:135], v[138:139]
	v_fma_f64 v[140:141], v[132:133], v[136:137], -v[140:141]
	v_mul_f64 v[132:133], v[132:133], v[138:139]
	v_fma_f64 v[142:143], v[134:135], v[136:137], v[132:133]
	global_load_dwordx4 v[136:139], v[144:145], off offset:1792
	ds_read_b128 v[132:135], v226 offset:4576
	;; [unrolled: 8-line block ×3, first 2 shown]
	ds_write_b128 v226, v[140:143] offset:4576
	s_waitcnt vmcnt(0) lgkmcnt(1)
	v_mul_f64 v[140:141], v[134:135], v[138:139]
	v_fma_f64 v[140:141], v[132:133], v[136:137], -v[140:141]
	v_mul_f64 v[132:133], v[132:133], v[138:139]
	v_fma_f64 v[142:143], v[134:135], v[136:137], v[132:133]
	ds_write_b128 v226, v[140:143] offset:4992
	s_waitcnt lgkmcnt(0)
	; wave barrier
	s_waitcnt lgkmcnt(0)
	ds_read_b128 v[176:179], v226
	ds_read_b128 v[180:183], v226 offset:416
	ds_read_b128 v[168:171], v226 offset:832
	ds_read_b128 v[160:163], v226 offset:1248
	ds_read_b128 v[152:155], v226 offset:1664
	ds_read_b128 v[144:147], v226 offset:2080
	ds_read_b128 v[136:139], v226 offset:2496
	ds_read_b128 v[140:143], v226 offset:2912
	ds_read_b128 v[148:151], v226 offset:3328
	ds_read_b128 v[156:159], v226 offset:3744
	ds_read_b128 v[164:167], v226 offset:4160
	ds_read_b128 v[172:175], v226 offset:4576
	ds_read_b128 v[185:188], v226 offset:4992
	s_waitcnt lgkmcnt(11)
	v_add_f64 v[132:133], v[176:177], v[180:181]
	v_add_f64 v[134:135], v[178:179], v[182:183]
	s_waitcnt lgkmcnt(0)
	; wave barrier
	s_waitcnt lgkmcnt(0)
	v_add_f64 v[191:192], v[182:183], v[187:188]
	v_add_f64 v[182:183], v[182:183], -v[187:188]
	v_add_f64 v[189:190], v[180:181], v[185:186]
	v_add_f64 v[180:181], v[180:181], -v[185:186]
	v_add_f64 v[132:133], v[132:133], v[168:169]
	v_add_f64 v[134:135], v[134:135], v[170:171]
	v_mul_f64 v[193:194], v[191:192], s[22:23]
	v_mul_f64 v[197:198], v[182:183], s[14:15]
	;; [unrolled: 1-line block ×4, first 2 shown]
	v_add_f64 v[132:133], v[132:133], v[160:161]
	v_add_f64 v[134:135], v[134:135], v[162:163]
	v_mul_f64 v[221:222], v[182:183], s[24:25]
	v_mul_f64 v[201:202], v[191:192], s[12:13]
	;; [unrolled: 1-line block ×3, first 2 shown]
	v_fma_f64 v[199:200], v[189:190], s[12:13], v[197:198]
	v_fma_f64 v[197:198], v[189:190], s[12:13], -v[197:198]
	v_fma_f64 v[207:208], v[189:190], s[6:7], v[205:206]
	v_add_f64 v[132:133], v[132:133], v[152:153]
	v_add_f64 v[134:135], v[134:135], v[154:155]
	v_fma_f64 v[205:206], v[189:190], s[6:7], -v[205:206]
	v_fma_f64 v[215:216], v[189:190], s[18:19], v[213:214]
	v_mul_f64 v[217:218], v[191:192], s[18:19]
	v_fma_f64 v[213:214], v[189:190], s[18:19], -v[213:214]
	v_fma_f64 v[223:224], v[189:190], s[26:27], v[221:222]
	v_mul_f64 v[236:237], v[191:192], s[26:27]
	v_add_f64 v[132:133], v[132:133], v[144:145]
	v_add_f64 v[134:135], v[134:135], v[146:147]
	v_fma_f64 v[221:222], v[189:190], s[26:27], -v[221:222]
	v_mul_f64 v[191:192], v[191:192], s[30:31]
	v_fma_f64 v[195:196], v[180:181], s[38:39], v[193:194]
	v_fma_f64 v[193:194], v[180:181], s[20:21], v[193:194]
	v_add_f64 v[199:200], v[176:177], v[199:200]
	v_fma_f64 v[203:204], v[180:181], s[42:43], v[201:202]
	v_add_f64 v[132:133], v[132:133], v[136:137]
	v_add_f64 v[134:135], v[134:135], v[138:139]
	;; [unrolled: 1-line block ×3, first 2 shown]
	v_fma_f64 v[201:202], v[180:181], s[14:15], v[201:202]
	v_add_f64 v[207:208], v[176:177], v[207:208]
	v_fma_f64 v[211:212], v[180:181], s[34:35], v[209:210]
	v_add_f64 v[205:206], v[176:177], v[205:206]
	;; [unrolled: 2-line block ×3, first 2 shown]
	v_add_f64 v[134:135], v[134:135], v[142:143]
	v_add_f64 v[215:216], v[176:177], v[215:216]
	v_fma_f64 v[219:220], v[180:181], s[40:41], v[217:218]
	v_add_f64 v[213:214], v[176:177], v[213:214]
	v_fma_f64 v[217:218], v[180:181], s[16:17], v[217:218]
	;; [unrolled: 2-line block ×3, first 2 shown]
	v_add_f64 v[132:133], v[132:133], v[148:149]
	v_add_f64 v[134:135], v[134:135], v[150:151]
	;; [unrolled: 1-line block ×3, first 2 shown]
	v_fma_f64 v[236:237], v[180:181], s[24:25], v[236:237]
	v_fma_f64 v[242:243], v[180:181], s[44:45], v[191:192]
	;; [unrolled: 1-line block ×3, first 2 shown]
	v_add_f64 v[195:196], v[178:179], v[195:196]
	v_add_f64 v[193:194], v[178:179], v[193:194]
	;; [unrolled: 1-line block ×17, first 2 shown]
	v_add_f64 v[168:169], v[168:169], -v[172:173]
	v_add_f64 v[132:133], v[132:133], v[172:173]
	v_add_f64 v[134:135], v[134:135], v[174:175]
	;; [unrolled: 1-line block ×3, first 2 shown]
	v_mul_f64 v[185:186], v[182:183], s[20:21]
	v_mul_f64 v[182:183], v[182:183], s[28:29]
	v_add_f64 v[134:135], v[134:135], v[187:188]
	v_fma_f64 v[187:188], v[189:190], s[22:23], v[185:186]
	v_fma_f64 v[185:186], v[189:190], s[22:23], -v[185:186]
	v_fma_f64 v[240:241], v[189:190], s[30:31], v[182:183]
	v_fma_f64 v[182:183], v[189:190], s[30:31], -v[182:183]
	v_add_f64 v[187:188], v[176:177], v[187:188]
	v_add_f64 v[185:186], v[176:177], v[185:186]
	v_add_f64 v[240:241], v[176:177], v[240:241]
	v_add_f64 v[176:177], v[176:177], v[182:183]
	v_add_f64 v[182:183], v[170:171], v[174:175]
	v_add_f64 v[170:171], v[170:171], -v[174:175]
	v_mul_f64 v[172:173], v[170:171], s[14:15]
	v_fma_f64 v[174:175], v[180:181], s[12:13], v[172:173]
	v_fma_f64 v[172:173], v[180:181], s[12:13], -v[172:173]
	v_add_f64 v[174:175], v[174:175], v[187:188]
	v_mul_f64 v[187:188], v[182:183], s[12:13]
	v_add_f64 v[172:173], v[172:173], v[185:186]
	v_fma_f64 v[189:190], v[168:169], s[42:43], v[187:188]
	v_fma_f64 v[185:186], v[168:169], s[14:15], v[187:188]
	v_mul_f64 v[187:188], v[170:171], s[16:17]
	v_add_f64 v[189:190], v[189:190], v[195:196]
	v_add_f64 v[185:186], v[185:186], v[193:194]
	v_fma_f64 v[191:192], v[180:181], s[18:19], v[187:188]
	v_mul_f64 v[193:194], v[182:183], s[18:19]
	v_fma_f64 v[187:188], v[180:181], s[18:19], -v[187:188]
	v_add_f64 v[191:192], v[191:192], v[199:200]
	v_fma_f64 v[195:196], v[168:169], s[40:41], v[193:194]
	v_add_f64 v[187:188], v[187:188], v[197:198]
	v_fma_f64 v[193:194], v[168:169], s[16:17], v[193:194]
	v_mul_f64 v[197:198], v[170:171], s[28:29]
	v_add_f64 v[195:196], v[195:196], v[203:204]
	v_add_f64 v[193:194], v[193:194], v[201:202]
	v_fma_f64 v[199:200], v[180:181], s[30:31], v[197:198]
	v_mul_f64 v[201:202], v[182:183], s[30:31]
	v_fma_f64 v[197:198], v[180:181], s[30:31], -v[197:198]
	v_add_f64 v[199:200], v[199:200], v[207:208]
	v_fma_f64 v[203:204], v[168:169], s[44:45], v[201:202]
	v_add_f64 v[197:198], v[197:198], v[205:206]
	;; [unrolled: 10-line block ×3, first 2 shown]
	v_fma_f64 v[209:210], v[168:169], s[36:37], v[209:210]
	v_mul_f64 v[213:214], v[170:171], s[34:35]
	v_mul_f64 v[170:171], v[170:171], s[38:39]
	v_add_f64 v[211:212], v[211:212], v[219:220]
	v_add_f64 v[209:210], v[209:210], v[217:218]
	v_fma_f64 v[215:216], v[180:181], s[6:7], v[213:214]
	v_mul_f64 v[217:218], v[182:183], s[6:7]
	v_mul_f64 v[182:183], v[182:183], s[22:23]
	v_fma_f64 v[213:214], v[180:181], s[6:7], -v[213:214]
	v_add_f64 v[215:216], v[215:216], v[223:224]
	v_fma_f64 v[219:220], v[168:169], s[2:3], v[217:218]
	v_fma_f64 v[217:218], v[168:169], s[34:35], v[217:218]
	;; [unrolled: 1-line block ×4, first 2 shown]
	v_add_f64 v[213:214], v[213:214], v[221:222]
	v_fma_f64 v[221:222], v[180:181], s[22:23], v[170:171]
	v_fma_f64 v[170:171], v[180:181], s[22:23], -v[170:171]
	v_add_f64 v[219:220], v[219:220], v[238:239]
	v_add_f64 v[217:218], v[217:218], v[236:237]
	;; [unrolled: 1-line block ×5, first 2 shown]
	v_add_f64 v[162:163], v[162:163], -v[166:167]
	v_add_f64 v[170:171], v[170:171], v[176:177]
	v_add_f64 v[176:177], v[160:161], v[164:165]
	v_add_f64 v[160:161], v[160:161], -v[164:165]
	v_add_f64 v[221:222], v[221:222], v[240:241]
	v_mul_f64 v[164:165], v[162:163], s[2:3]
	v_fma_f64 v[166:167], v[176:177], s[6:7], v[164:165]
	v_fma_f64 v[164:165], v[176:177], s[6:7], -v[164:165]
	v_add_f64 v[166:167], v[166:167], v[174:175]
	v_mul_f64 v[174:175], v[178:179], s[6:7]
	v_add_f64 v[164:165], v[164:165], v[172:173]
	v_fma_f64 v[180:181], v[160:161], s[34:35], v[174:175]
	v_fma_f64 v[172:173], v[160:161], s[2:3], v[174:175]
	v_mul_f64 v[174:175], v[162:163], s[28:29]
	v_add_f64 v[180:181], v[180:181], v[189:190]
	v_add_f64 v[172:173], v[172:173], v[185:186]
	v_fma_f64 v[182:183], v[176:177], s[30:31], v[174:175]
	v_fma_f64 v[174:175], v[176:177], s[30:31], -v[174:175]
	v_mul_f64 v[185:186], v[178:179], s[30:31]
	v_add_f64 v[182:183], v[182:183], v[191:192]
	v_add_f64 v[174:175], v[174:175], v[187:188]
	v_mul_f64 v[187:188], v[162:163], s[40:41]
	v_fma_f64 v[189:190], v[160:161], s[44:45], v[185:186]
	v_fma_f64 v[185:186], v[160:161], s[28:29], v[185:186]
	;; [unrolled: 1-line block ×3, first 2 shown]
	v_fma_f64 v[187:188], v[176:177], s[18:19], -v[187:188]
	v_add_f64 v[185:186], v[185:186], v[193:194]
	v_mul_f64 v[193:194], v[178:179], s[18:19]
	v_add_f64 v[189:190], v[189:190], v[195:196]
	v_add_f64 v[191:192], v[191:192], v[199:200]
	;; [unrolled: 1-line block ×3, first 2 shown]
	v_mul_f64 v[197:198], v[162:163], s[38:39]
	v_fma_f64 v[195:196], v[160:161], s[16:17], v[193:194]
	v_fma_f64 v[193:194], v[160:161], s[40:41], v[193:194]
	;; [unrolled: 1-line block ×3, first 2 shown]
	v_fma_f64 v[197:198], v[176:177], s[22:23], -v[197:198]
	v_add_f64 v[193:194], v[193:194], v[201:202]
	v_mul_f64 v[201:202], v[178:179], s[22:23]
	v_add_f64 v[195:196], v[195:196], v[203:204]
	v_add_f64 v[199:200], v[199:200], v[207:208]
	;; [unrolled: 1-line block ×3, first 2 shown]
	v_mul_f64 v[205:206], v[162:163], s[14:15]
	v_fma_f64 v[203:204], v[160:161], s[20:21], v[201:202]
	v_fma_f64 v[201:202], v[160:161], s[38:39], v[201:202]
	v_mul_f64 v[162:163], v[162:163], s[24:25]
	v_fma_f64 v[207:208], v[176:177], s[12:13], v[205:206]
	v_fma_f64 v[205:206], v[176:177], s[12:13], -v[205:206]
	v_add_f64 v[201:202], v[201:202], v[209:210]
	v_mul_f64 v[209:210], v[178:179], s[12:13]
	v_mul_f64 v[178:179], v[178:179], s[26:27]
	v_add_f64 v[203:204], v[203:204], v[211:212]
	v_add_f64 v[207:208], v[207:208], v[215:216]
	;; [unrolled: 1-line block ×3, first 2 shown]
	v_fma_f64 v[213:214], v[176:177], s[26:27], v[162:163]
	v_fma_f64 v[162:163], v[176:177], s[26:27], -v[162:163]
	v_fma_f64 v[211:212], v[160:161], s[42:43], v[209:210]
	v_fma_f64 v[209:210], v[160:161], s[14:15], v[209:210]
	;; [unrolled: 1-line block ×4, first 2 shown]
	v_add_f64 v[213:214], v[213:214], v[221:222]
	v_add_f64 v[162:163], v[162:163], v[170:171]
	;; [unrolled: 1-line block ×3, first 2 shown]
	v_add_f64 v[154:155], v[154:155], -v[158:159]
	v_add_f64 v[211:212], v[211:212], v[219:220]
	v_add_f64 v[160:161], v[160:161], v[168:169]
	;; [unrolled: 1-line block ×3, first 2 shown]
	v_add_f64 v[152:153], v[152:153], -v[156:157]
	v_add_f64 v[209:210], v[209:210], v[217:218]
	v_add_f64 v[215:216], v[215:216], v[223:224]
	v_mul_f64 v[178:179], v[170:171], s[26:27]
	v_mul_f64 v[156:157], v[154:155], s[16:17]
	v_fma_f64 v[158:159], v[168:169], s[18:19], v[156:157]
	v_fma_f64 v[156:157], v[168:169], s[18:19], -v[156:157]
	v_add_f64 v[158:159], v[158:159], v[166:167]
	v_mul_f64 v[166:167], v[170:171], s[18:19]
	v_add_f64 v[156:157], v[156:157], v[164:165]
	v_fma_f64 v[176:177], v[152:153], s[40:41], v[166:167]
	v_fma_f64 v[164:165], v[152:153], s[16:17], v[166:167]
	v_mul_f64 v[166:167], v[154:155], s[36:37]
	v_add_f64 v[176:177], v[176:177], v[180:181]
	v_add_f64 v[164:165], v[164:165], v[172:173]
	v_fma_f64 v[172:173], v[168:169], s[26:27], v[166:167]
	v_fma_f64 v[166:167], v[168:169], s[26:27], -v[166:167]
	v_fma_f64 v[180:181], v[152:153], s[24:25], v[178:179]
	v_add_f64 v[172:173], v[172:173], v[182:183]
	v_add_f64 v[166:167], v[166:167], v[174:175]
	v_fma_f64 v[174:175], v[152:153], s[36:37], v[178:179]
	v_mul_f64 v[178:179], v[154:155], s[38:39]
	v_add_f64 v[180:181], v[180:181], v[189:190]
	v_add_f64 v[174:175], v[174:175], v[185:186]
	v_fma_f64 v[182:183], v[168:169], s[22:23], v[178:179]
	v_fma_f64 v[178:179], v[168:169], s[22:23], -v[178:179]
	v_mul_f64 v[185:186], v[170:171], s[22:23]
	v_add_f64 v[182:183], v[182:183], v[191:192]
	v_add_f64 v[178:179], v[178:179], v[187:188]
	v_mul_f64 v[187:188], v[154:155], s[2:3]
	v_fma_f64 v[189:190], v[152:153], s[20:21], v[185:186]
	v_fma_f64 v[185:186], v[152:153], s[38:39], v[185:186]
	;; [unrolled: 1-line block ×3, first 2 shown]
	v_fma_f64 v[187:188], v[168:169], s[6:7], -v[187:188]
	v_add_f64 v[185:186], v[185:186], v[193:194]
	v_mul_f64 v[193:194], v[170:171], s[6:7]
	v_add_f64 v[189:190], v[189:190], v[195:196]
	v_add_f64 v[191:192], v[191:192], v[199:200]
	;; [unrolled: 1-line block ×3, first 2 shown]
	v_mul_f64 v[197:198], v[154:155], s[44:45]
	v_fma_f64 v[195:196], v[152:153], s[34:35], v[193:194]
	v_fma_f64 v[193:194], v[152:153], s[2:3], v[193:194]
	v_mul_f64 v[154:155], v[154:155], s[42:43]
	v_fma_f64 v[199:200], v[168:169], s[30:31], v[197:198]
	v_fma_f64 v[197:198], v[168:169], s[30:31], -v[197:198]
	v_add_f64 v[193:194], v[193:194], v[201:202]
	v_mul_f64 v[201:202], v[170:171], s[30:31]
	v_mul_f64 v[170:171], v[170:171], s[12:13]
	v_add_f64 v[195:196], v[195:196], v[203:204]
	v_add_f64 v[199:200], v[199:200], v[207:208]
	;; [unrolled: 1-line block ×3, first 2 shown]
	v_fma_f64 v[205:206], v[168:169], s[12:13], v[154:155]
	v_fma_f64 v[154:155], v[168:169], s[12:13], -v[154:155]
	v_fma_f64 v[203:204], v[152:153], s[28:29], v[201:202]
	v_fma_f64 v[201:202], v[152:153], s[44:45], v[201:202]
	;; [unrolled: 1-line block ×4, first 2 shown]
	v_add_f64 v[205:206], v[205:206], v[213:214]
	v_add_f64 v[154:155], v[154:155], v[162:163]
	;; [unrolled: 1-line block ×3, first 2 shown]
	v_add_f64 v[146:147], v[146:147], -v[150:151]
	v_add_f64 v[203:204], v[203:204], v[211:212]
	v_add_f64 v[152:153], v[152:153], v[160:161]
	v_add_f64 v[160:161], v[144:145], v[148:149]
	v_add_f64 v[144:145], v[144:145], -v[148:149]
	v_add_f64 v[211:212], v[138:139], -v[142:143]
	v_add_f64 v[201:202], v[201:202], v[209:210]
	v_mul_f64 v[170:171], v[162:163], s[6:7]
	v_mul_f64 v[148:149], v[146:147], s[24:25]
	v_add_f64 v[207:208], v[207:208], v[215:216]
	v_add_f64 v[209:210], v[136:137], -v[140:141]
	v_fma_f64 v[150:151], v[160:161], s[26:27], v[148:149]
	v_fma_f64 v[148:149], v[160:161], s[26:27], -v[148:149]
	v_add_f64 v[150:151], v[150:151], v[158:159]
	v_mul_f64 v[158:159], v[162:163], s[26:27]
	v_add_f64 v[148:149], v[148:149], v[156:157]
	v_fma_f64 v[168:169], v[144:145], s[36:37], v[158:159]
	v_fma_f64 v[156:157], v[144:145], s[24:25], v[158:159]
	v_mul_f64 v[158:159], v[146:147], s[34:35]
	v_add_f64 v[168:169], v[168:169], v[176:177]
	v_add_f64 v[156:157], v[156:157], v[164:165]
	v_fma_f64 v[164:165], v[160:161], s[6:7], v[158:159]
	v_fma_f64 v[158:159], v[160:161], s[6:7], -v[158:159]
	v_mul_f64 v[176:177], v[162:163], s[12:13]
	v_add_f64 v[164:165], v[164:165], v[172:173]
	v_fma_f64 v[172:173], v[144:145], s[2:3], v[170:171]
	v_add_f64 v[158:159], v[158:159], v[166:167]
	v_fma_f64 v[166:167], v[144:145], s[34:35], v[170:171]
	v_mul_f64 v[170:171], v[146:147], s[14:15]
	v_add_f64 v[172:173], v[172:173], v[180:181]
	v_fma_f64 v[180:181], v[144:145], s[42:43], v[176:177]
	v_add_f64 v[166:167], v[166:167], v[174:175]
	v_fma_f64 v[174:175], v[160:161], s[12:13], v[170:171]
	v_fma_f64 v[170:171], v[160:161], s[12:13], -v[170:171]
	v_fma_f64 v[176:177], v[144:145], s[14:15], v[176:177]
	v_add_f64 v[180:181], v[180:181], v[189:190]
	v_add_f64 v[174:175], v[174:175], v[182:183]
	;; [unrolled: 1-line block ×3, first 2 shown]
	v_mul_f64 v[178:179], v[146:147], s[44:45]
	v_add_f64 v[176:177], v[176:177], v[185:186]
	v_mul_f64 v[185:186], v[162:163], s[30:31]
	v_fma_f64 v[182:183], v[160:161], s[30:31], v[178:179]
	v_fma_f64 v[178:179], v[160:161], s[30:31], -v[178:179]
	v_fma_f64 v[189:190], v[144:145], s[28:29], v[185:186]
	v_fma_f64 v[185:186], v[144:145], s[44:45], v[185:186]
	v_add_f64 v[182:183], v[182:183], v[191:192]
	v_add_f64 v[178:179], v[178:179], v[187:188]
	v_mul_f64 v[187:188], v[146:147], s[38:39]
	v_mul_f64 v[146:147], v[146:147], s[16:17]
	v_add_f64 v[185:186], v[185:186], v[193:194]
	v_mul_f64 v[193:194], v[162:163], s[22:23]
	v_mul_f64 v[162:163], v[162:163], s[18:19]
	v_add_f64 v[189:190], v[189:190], v[195:196]
	v_fma_f64 v[191:192], v[160:161], s[22:23], v[187:188]
	v_fma_f64 v[187:188], v[160:161], s[22:23], -v[187:188]
	v_fma_f64 v[195:196], v[144:145], s[20:21], v[193:194]
	v_fma_f64 v[193:194], v[144:145], s[38:39], v[193:194]
	v_add_f64 v[191:192], v[191:192], v[199:200]
	v_add_f64 v[187:188], v[187:188], v[197:198]
	v_fma_f64 v[197:198], v[160:161], s[18:19], v[146:147]
	v_fma_f64 v[199:200], v[144:145], s[40:41], v[162:163]
	;; [unrolled: 1-line block ×3, first 2 shown]
	v_add_f64 v[195:196], v[195:196], v[203:204]
	v_fma_f64 v[146:147], v[160:161], s[18:19], -v[146:147]
	v_add_f64 v[193:194], v[193:194], v[201:202]
	v_add_f64 v[197:198], v[197:198], v[205:206]
	;; [unrolled: 1-line block ×3, first 2 shown]
	v_mul_f64 v[136:137], v[211:212], s[28:29]
	v_add_f64 v[199:200], v[199:200], v[207:208]
	v_add_f64 v[207:208], v[138:139], v[142:143]
	;; [unrolled: 1-line block ×4, first 2 shown]
	v_fma_f64 v[138:139], v[205:206], s[30:31], v[136:137]
	v_fma_f64 v[136:137], v[205:206], s[30:31], -v[136:137]
	v_add_f64 v[140:141], v[138:139], v[150:151]
	v_mul_f64 v[138:139], v[207:208], s[30:31]
	v_add_f64 v[136:137], v[136:137], v[148:149]
	v_mul_f64 v[148:149], v[211:212], s[38:39]
	v_mul_f64 v[150:151], v[207:208], s[22:23]
	v_fma_f64 v[142:143], v[209:210], s[44:45], v[138:139]
	v_fma_f64 v[138:139], v[209:210], s[28:29], v[138:139]
	;; [unrolled: 1-line block ×3, first 2 shown]
	v_fma_f64 v[148:149], v[205:206], s[22:23], -v[148:149]
	v_fma_f64 v[146:147], v[209:210], s[20:21], v[150:151]
	v_fma_f64 v[150:151], v[209:210], s[38:39], v[150:151]
	v_add_f64 v[142:143], v[142:143], v[168:169]
	v_add_f64 v[138:139], v[138:139], v[156:157]
	v_mul_f64 v[156:157], v[211:212], s[24:25]
	v_add_f64 v[144:145], v[144:145], v[164:165]
	v_add_f64 v[148:149], v[148:149], v[158:159]
	v_mul_f64 v[158:159], v[207:208], s[26:27]
	v_mul_f64 v[164:165], v[211:212], s[42:43]
	v_add_f64 v[150:151], v[150:151], v[166:167]
	v_mul_f64 v[166:167], v[207:208], s[12:13]
	v_add_f64 v[146:147], v[146:147], v[172:173]
	v_fma_f64 v[152:153], v[205:206], s[26:27], v[156:157]
	v_fma_f64 v[156:157], v[205:206], s[26:27], -v[156:157]
	v_mul_f64 v[172:173], v[211:212], s[16:17]
	v_fma_f64 v[154:155], v[209:210], s[36:37], v[158:159]
	v_fma_f64 v[160:161], v[205:206], s[12:13], v[164:165]
	;; [unrolled: 1-line block ×3, first 2 shown]
	v_fma_f64 v[164:165], v[205:206], s[12:13], -v[164:165]
	v_fma_f64 v[162:163], v[209:210], s[14:15], v[166:167]
	v_add_f64 v[152:153], v[152:153], v[174:175]
	v_mul_f64 v[174:175], v[207:208], s[18:19]
	v_add_f64 v[156:157], v[156:157], v[170:171]
	v_add_f64 v[154:155], v[154:155], v[180:181]
	;; [unrolled: 1-line block ×3, first 2 shown]
	v_mul_f64 v[180:181], v[211:212], s[34:35]
	v_mul_f64 v[182:183], v[207:208], s[6:7]
	v_fma_f64 v[168:169], v[205:206], s[18:19], v[172:173]
	v_add_f64 v[158:159], v[158:159], v[176:177]
	v_fma_f64 v[170:171], v[209:210], s[40:41], v[174:175]
	v_add_f64 v[164:165], v[164:165], v[178:179]
	v_fma_f64 v[166:167], v[209:210], s[42:43], v[166:167]
	v_fma_f64 v[172:173], v[205:206], s[18:19], -v[172:173]
	v_fma_f64 v[176:177], v[205:206], s[6:7], v[180:181]
	v_fma_f64 v[178:179], v[209:210], s[2:3], v[182:183]
	;; [unrolled: 1-line block ×3, first 2 shown]
	v_fma_f64 v[180:181], v[205:206], s[6:7], -v[180:181]
	v_fma_f64 v[182:183], v[209:210], s[34:35], v[182:183]
	v_add_f64 v[162:163], v[162:163], v[189:190]
	v_add_f64 v[168:169], v[168:169], v[191:192]
	;; [unrolled: 1-line block ×10, first 2 shown]
	ds_write_b128 v229, v[132:135]
	ds_write_b128 v229, v[140:143] offset:16
	ds_write_b128 v229, v[144:147] offset:32
	;; [unrolled: 1-line block ×12, first 2 shown]
	s_waitcnt lgkmcnt(0)
	; wave barrier
	s_waitcnt lgkmcnt(0)
	ds_read_b128 v[156:159], v226
	ds_read_b128 v[168:171], v226 offset:2704
	ds_read_b128 v[152:155], v226 offset:416
	;; [unrolled: 1-line block ×11, first 2 shown]
	s_and_saveexec_b64 s[0:1], vcc
	s_cbranch_execz .LBB0_7
; %bb.6:
	ds_read_b128 v[136:139], v226 offset:2496
	ds_read_b128 v[72:75], v226 offset:5200
.LBB0_7:
	s_or_b64 exec, exec, s[0:1]
	s_waitcnt lgkmcnt(10)
	v_mul_f64 v[185:186], v[62:63], v[170:171]
	v_mul_f64 v[62:63], v[62:63], v[168:169]
	s_waitcnt lgkmcnt(8)
	v_mul_f64 v[187:188], v[58:59], v[174:175]
	v_mul_f64 v[58:59], v[58:59], v[172:173]
	;; [unrolled: 3-line block ×4, first 2 shown]
	v_fma_f64 v[168:169], v[60:61], v[168:169], v[185:186]
	v_fma_f64 v[60:61], v[60:61], v[170:171], -v[62:63]
	v_fma_f64 v[62:63], v[56:57], v[172:173], v[187:188]
	v_fma_f64 v[170:171], v[56:57], v[174:175], -v[58:59]
	;; [unrolled: 2-line block ×4, first 2 shown]
	s_waitcnt lgkmcnt(2)
	v_mul_f64 v[64:65], v[82:83], v[162:163]
	v_mul_f64 v[66:67], v[82:83], v[160:161]
	s_waitcnt lgkmcnt(0)
	v_mul_f64 v[68:69], v[78:79], v[166:167]
	v_mul_f64 v[70:71], v[78:79], v[164:165]
	v_add_f64 v[56:57], v[156:157], -v[168:169]
	v_add_f64 v[58:59], v[158:159], -v[60:61]
	;; [unrolled: 1-line block ×4, first 2 shown]
	v_fma_f64 v[160:161], v[80:81], v[160:161], v[64:65]
	v_fma_f64 v[162:163], v[80:81], v[162:163], -v[66:67]
	v_fma_f64 v[164:165], v[76:77], v[164:165], v[68:69]
	v_fma_f64 v[166:167], v[76:77], v[166:167], -v[70:71]
	v_add_f64 v[76:77], v[132:133], -v[172:173]
	v_add_f64 v[78:79], v[134:135], -v[174:175]
	v_add_f64 v[80:81], v[140:141], -v[176:177]
	v_add_f64 v[82:83], v[142:143], -v[178:179]
	v_fma_f64 v[64:65], v[156:157], 2.0, -v[56:57]
	v_fma_f64 v[66:67], v[158:159], 2.0, -v[58:59]
	;; [unrolled: 1-line block ×4, first 2 shown]
	v_add_f64 v[152:153], v[148:149], -v[160:161]
	v_add_f64 v[154:155], v[150:151], -v[162:163]
	;; [unrolled: 1-line block ×4, first 2 shown]
	v_fma_f64 v[132:133], v[132:133], 2.0, -v[76:77]
	v_fma_f64 v[134:135], v[134:135], 2.0, -v[78:79]
	;; [unrolled: 1-line block ×8, first 2 shown]
	s_waitcnt lgkmcnt(0)
	; wave barrier
	ds_write_b128 v230, v[64:67]
	ds_write_b128 v230, v[56:59] offset:208
	ds_write_b128 v231, v[68:71]
	ds_write_b128 v231, v[60:63] offset:208
	;; [unrolled: 2-line block ×6, first 2 shown]
	s_and_saveexec_b64 s[0:1], vcc
	s_cbranch_execz .LBB0_9
; %bb.8:
	v_mul_f64 v[56:57], v[54:55], v[72:73]
	v_mul_f64 v[54:55], v[54:55], v[74:75]
	v_and_b32_e32 v60, 0xff, v228
	v_lshl_add_u32 v60, v60, 4, v227
	v_fma_f64 v[56:57], v[52:53], v[74:75], -v[56:57]
	v_fma_f64 v[52:53], v[52:53], v[72:73], v[54:55]
	v_add_f64 v[54:55], v[138:139], -v[56:57]
	v_add_f64 v[52:53], v[136:137], -v[52:53]
	v_fma_f64 v[58:59], v[138:139], 2.0, -v[54:55]
	v_fma_f64 v[56:57], v[136:137], 2.0, -v[52:53]
	ds_write_b128 v60, v[56:59] offset:4992
	ds_write_b128 v60, v[52:55] offset:5200
.LBB0_9:
	s_or_b64 exec, exec, s[0:1]
	s_waitcnt lgkmcnt(0)
	; wave barrier
	s_waitcnt lgkmcnt(0)
	ds_read_b128 v[52:55], v226 offset:416
	ds_read_b128 v[56:59], v226 offset:832
	ds_read_b128 v[72:75], v226
	ds_read_b128 v[60:63], v226 offset:1248
	s_mov_b32 s0, 0xe00740e9
	s_mov_b32 s1, 0x3fec55a7
	s_waitcnt lgkmcnt(2)
	v_mul_f64 v[68:69], v[106:107], v[58:59]
	v_mul_f64 v[64:65], v[114:115], v[54:55]
	;; [unrolled: 1-line block ×4, first 2 shown]
	s_waitcnt lgkmcnt(0)
	v_mul_f64 v[76:77], v[98:99], v[62:63]
	v_mul_f64 v[78:79], v[98:99], v[60:61]
	s_mov_b32 s6, 0x4267c47c
	s_mov_b32 s16, 0x42a4c3d2
	v_fma_f64 v[114:115], v[104:105], v[56:57], v[68:69]
	v_fma_f64 v[106:107], v[112:113], v[52:53], v[64:65]
	v_fma_f64 v[112:113], v[112:113], v[54:55], -v[66:67]
	v_fma_f64 v[104:105], v[104:105], v[58:59], -v[70:71]
	ds_read_b128 v[52:55], v226 offset:1664
	ds_read_b128 v[64:67], v226 offset:2080
	v_fma_f64 v[132:133], v[96:97], v[60:61], v[76:77]
	v_fma_f64 v[134:135], v[96:97], v[62:63], -v[78:79]
	ds_read_b128 v[56:59], v226 offset:2496
	ds_read_b128 v[68:71], v226 offset:2912
	s_waitcnt lgkmcnt(3)
	v_mul_f64 v[98:99], v[94:95], v[54:55]
	v_add_f64 v[80:81], v[72:73], v[106:107]
	v_add_f64 v[82:83], v[74:75], v[112:113]
	v_mul_f64 v[94:95], v[94:95], v[52:53]
	s_waitcnt lgkmcnt(2)
	v_mul_f64 v[136:137], v[126:127], v[66:67]
	v_mul_f64 v[126:127], v[126:127], v[64:65]
	s_waitcnt lgkmcnt(1)
	v_mul_f64 v[142:143], v[102:103], v[58:59]
	v_mul_f64 v[102:103], v[102:103], v[56:57]
	v_fma_f64 v[138:139], v[92:93], v[52:53], v[98:99]
	v_add_f64 v[60:61], v[80:81], v[114:115]
	v_add_f64 v[62:63], v[82:83], v[104:105]
	v_fma_f64 v[140:141], v[92:93], v[54:55], -v[94:95]
	v_fma_f64 v[64:65], v[124:125], v[64:65], v[136:137]
	v_fma_f64 v[66:67], v[124:125], v[66:67], -v[126:127]
	s_waitcnt lgkmcnt(0)
	v_mul_f64 v[124:125], v[90:91], v[70:71]
	v_mul_f64 v[90:91], v[90:91], v[68:69]
	v_fma_f64 v[56:57], v[100:101], v[56:57], v[142:143]
	v_add_f64 v[60:61], v[60:61], v[132:133]
	v_add_f64 v[62:63], v[62:63], v[134:135]
	v_fma_f64 v[58:59], v[100:101], v[58:59], -v[102:103]
	ds_read_b128 v[76:79], v226 offset:3328
	ds_read_b128 v[80:83], v226 offset:3744
	;; [unrolled: 1-line block ×5, first 2 shown]
	s_mov_b32 s22, 0x2ef20147
	s_mov_b32 s30, 0x24c2f84
	s_waitcnt lgkmcnt(4)
	v_mul_f64 v[126:127], v[86:87], v[78:79]
	v_add_f64 v[60:61], v[60:61], v[138:139]
	v_add_f64 v[62:63], v[62:63], v[140:141]
	v_mul_f64 v[86:87], v[86:87], v[76:77]
	s_mov_b32 s34, 0xd0032e0c
	s_mov_b32 s38, 0x4bc48dbf
	s_mov_b32 s7, 0xbfddbe06
	s_mov_b32 s25, 0x3fddbe06
	s_mov_b32 s24, s6
	v_add_f64 v[100:101], v[60:61], v[64:65]
	v_add_f64 v[102:103], v[62:63], v[66:67]
	v_fma_f64 v[60:61], v[88:89], v[68:69], v[124:125]
	v_fma_f64 v[62:63], v[88:89], v[70:71], -v[90:91]
	s_waitcnt lgkmcnt(0)
	v_mul_f64 v[124:125], v[122:123], v[96:97]
	v_fma_f64 v[68:69], v[84:85], v[76:77], v[126:127]
	v_fma_f64 v[70:71], v[84:85], v[78:79], -v[86:87]
	v_mul_f64 v[84:85], v[122:123], v[98:99]
	v_add_f64 v[88:89], v[100:101], v[56:57]
	v_add_f64 v[90:91], v[102:103], v[58:59]
	v_mul_f64 v[100:101], v[130:131], v[82:83]
	v_mul_f64 v[102:103], v[130:131], v[80:81]
	;; [unrolled: 1-line block ×4, first 2 shown]
	s_mov_b32 s17, 0xbfea55e2
	v_fma_f64 v[84:85], v[120:121], v[96:97], v[84:85]
	v_add_f64 v[76:77], v[88:89], v[60:61]
	v_add_f64 v[78:79], v[90:91], v[62:63]
	v_fma_f64 v[88:89], v[120:121], v[98:99], -v[124:125]
	v_fma_f64 v[80:81], v[128:129], v[80:81], v[100:101]
	v_fma_f64 v[82:83], v[128:129], v[82:83], -v[102:103]
	v_mul_f64 v[90:91], v[110:111], v[94:95]
	v_mul_f64 v[96:97], v[110:111], v[92:93]
	v_fma_f64 v[102:103], v[116:117], v[52:53], v[130:131]
	v_add_f64 v[76:77], v[76:77], v[68:69]
	v_add_f64 v[78:79], v[78:79], v[70:71]
	;; [unrolled: 1-line block ×3, first 2 shown]
	v_fma_f64 v[86:87], v[116:117], v[54:55], -v[86:87]
	v_add_f64 v[98:99], v[112:113], -v[88:89]
	v_fma_f64 v[90:91], v[108:109], v[92:93], v[90:91]
	v_fma_f64 v[92:93], v[108:109], v[94:95], -v[96:97]
	s_mov_b32 s23, 0xbfedeba7
	v_add_f64 v[52:53], v[76:77], v[80:81]
	v_add_f64 v[54:55], v[78:79], v[82:83]
	v_add_f64 v[78:79], v[106:107], -v[84:85]
	v_mul_f64 v[110:111], v[100:101], s[0:1]
	s_mov_b32 s31, 0xbfe5384d
	s_mov_b32 s35, 0xbfe7f3cc
	s_mov_b32 s39, 0xbfcea1e5
	v_add_f64 v[76:77], v[106:107], v[84:85]
	v_add_f64 v[52:53], v[52:53], v[102:103]
	;; [unrolled: 1-line block ×3, first 2 shown]
	v_mul_f64 v[106:107], v[98:99], s[6:7]
	v_fma_f64 v[96:97], v[78:79], s[24:25], v[110:111]
	v_fma_f64 v[108:109], v[78:79], s[6:7], v[110:111]
	v_mul_f64 v[110:111], v[98:99], s[16:17]
	v_mul_f64 v[112:113], v[98:99], s[2:3]
	;; [unrolled: 1-line block ×3, first 2 shown]
	v_add_f64 v[52:53], v[52:53], v[90:91]
	v_add_f64 v[54:55], v[54:55], v[92:93]
	v_mul_f64 v[130:131], v[98:99], s[30:31]
	v_mul_f64 v[136:137], v[100:101], s[34:35]
	;; [unrolled: 1-line block ×3, first 2 shown]
	v_add_f64 v[148:149], v[104:105], v[92:93]
	v_add_f64 v[92:93], v[104:105], -v[92:93]
	s_mov_b32 s18, 0x1ea71119
	s_mov_b32 s12, 0xebaa3ed8
	;; [unrolled: 1-line block ×9, first 2 shown]
	v_fma_f64 v[94:95], v[76:77], s[0:1], v[106:107]
	v_fma_f64 v[106:107], v[76:77], s[0:1], -v[106:107]
	v_add_f64 v[52:53], v[52:53], v[84:85]
	v_add_f64 v[54:55], v[54:55], v[88:89]
	v_fma_f64 v[84:85], v[76:77], s[18:19], v[110:111]
	v_mul_f64 v[88:89], v[100:101], s[18:19]
	v_mul_f64 v[116:117], v[100:101], s[12:13]
	v_fma_f64 v[110:111], v[76:77], s[18:19], -v[110:111]
	v_fma_f64 v[120:121], v[76:77], s[12:13], v[112:113]
	v_fma_f64 v[112:113], v[76:77], s[12:13], -v[112:113]
	v_fma_f64 v[126:127], v[76:77], s[26:27], v[124:125]
	v_mul_f64 v[128:129], v[100:101], s[26:27]
	v_fma_f64 v[124:125], v[76:77], s[26:27], -v[124:125]
	v_fma_f64 v[144:145], v[76:77], s[34:35], v[130:131]
	v_fma_f64 v[146:147], v[78:79], s[36:37], v[136:137]
	v_fma_f64 v[130:131], v[76:77], s[34:35], -v[130:131]
	v_fma_f64 v[136:137], v[78:79], s[30:31], v[136:137]
	v_mul_f64 v[100:101], v[100:101], s[40:41]
	v_fma_f64 v[104:105], v[76:77], s[40:41], v[98:99]
	v_add_f64 v[150:151], v[114:115], v[90:91]
	v_add_f64 v[90:91], v[114:115], -v[90:91]
	v_mul_f64 v[114:115], v[92:93], s[16:17]
	v_mul_f64 v[152:153], v[148:149], s[18:19]
	v_fma_f64 v[76:77], v[76:77], s[40:41], -v[98:99]
	s_mov_b32 s21, 0x3fea55e2
	s_mov_b32 s20, s16
	;; [unrolled: 1-line block ×8, first 2 shown]
	v_add_f64 v[94:95], v[72:73], v[94:95]
	v_add_f64 v[96:97], v[74:75], v[96:97]
	;; [unrolled: 1-line block ×3, first 2 shown]
	v_fma_f64 v[118:119], v[78:79], s[20:21], v[88:89]
	v_add_f64 v[84:85], v[72:73], v[84:85]
	v_fma_f64 v[88:89], v[78:79], s[16:17], v[88:89]
	v_fma_f64 v[122:123], v[78:79], s[14:15], v[116:117]
	v_add_f64 v[110:111], v[72:73], v[110:111]
	v_add_f64 v[120:121], v[72:73], v[120:121]
	v_fma_f64 v[116:117], v[78:79], s[2:3], v[116:117]
	v_fma_f64 v[142:143], v[78:79], s[28:29], v[128:129]
	;; [unrolled: 1-line block ×3, first 2 shown]
	v_add_f64 v[112:113], v[72:73], v[112:113]
	v_add_f64 v[126:127], v[72:73], v[126:127]
	;; [unrolled: 1-line block ×4, first 2 shown]
	v_fma_f64 v[154:155], v[78:79], s[42:43], v[100:101]
	v_fma_f64 v[78:79], v[78:79], s[38:39], v[100:101]
	v_add_f64 v[98:99], v[72:73], v[130:131]
	v_add_f64 v[100:101], v[74:75], v[136:137]
	v_fma_f64 v[130:131], v[150:151], s[18:19], v[114:115]
	v_fma_f64 v[136:137], v[90:91], s[20:21], v[152:153]
	v_add_f64 v[104:105], v[72:73], v[104:105]
	v_add_f64 v[72:73], v[72:73], v[76:77]
	v_mul_f64 v[76:77], v[92:93], s[22:23]
	v_add_f64 v[108:109], v[74:75], v[108:109]
	v_add_f64 v[118:119], v[74:75], v[118:119]
	;; [unrolled: 1-line block ×10, first 2 shown]
	v_mul_f64 v[78:79], v[148:149], s[26:27]
	v_add_f64 v[94:95], v[130:131], v[94:95]
	v_add_f64 v[96:97], v[136:137], v[96:97]
	v_fma_f64 v[114:115], v[150:151], s[18:19], -v[114:115]
	v_fma_f64 v[130:131], v[90:91], s[16:17], v[152:153]
	v_mul_f64 v[136:137], v[92:93], s[38:39]
	v_mul_f64 v[152:153], v[148:149], s[40:41]
	v_fma_f64 v[156:157], v[150:151], s[26:27], v[76:77]
	v_fma_f64 v[76:77], v[150:151], s[26:27], -v[76:77]
	v_fma_f64 v[158:159], v[90:91], s[28:29], v[78:79]
	v_fma_f64 v[78:79], v[90:91], s[22:23], v[78:79]
	v_add_f64 v[106:107], v[114:115], v[106:107]
	v_add_f64 v[108:109], v[130:131], v[108:109]
	v_fma_f64 v[114:115], v[150:151], s[40:41], v[136:137]
	v_fma_f64 v[130:131], v[90:91], s[42:43], v[152:153]
	v_fma_f64 v[136:137], v[150:151], s[40:41], -v[136:137]
	v_add_f64 v[76:77], v[76:77], v[110:111]
	v_mul_f64 v[110:111], v[148:149], s[34:35]
	v_add_f64 v[118:119], v[158:159], v[118:119]
	v_add_f64 v[78:79], v[78:79], v[88:89]
	v_mul_f64 v[88:89], v[92:93], s[36:37]
	v_add_f64 v[114:115], v[114:115], v[120:121]
	v_add_f64 v[120:121], v[130:131], v[122:123]
	v_mul_f64 v[122:123], v[92:93], s[14:15]
	v_add_f64 v[84:85], v[156:157], v[84:85]
	v_fma_f64 v[158:159], v[90:91], s[30:31], v[110:111]
	v_mul_f64 v[130:131], v[148:149], s[12:13]
	v_add_f64 v[112:113], v[136:137], v[112:113]
	v_fma_f64 v[156:157], v[150:151], s[34:35], v[88:89]
	v_fma_f64 v[88:89], v[150:151], s[34:35], -v[88:89]
	v_fma_f64 v[152:153], v[90:91], s[38:39], v[152:153]
	v_fma_f64 v[160:161], v[150:151], s[12:13], v[122:123]
	;; [unrolled: 1-line block ×3, first 2 shown]
	v_add_f64 v[136:137], v[158:159], v[142:143]
	v_add_f64 v[142:143], v[134:135], -v[86:87]
	v_fma_f64 v[162:163], v[90:91], s[2:3], v[130:131]
	v_add_f64 v[86:87], v[134:135], v[86:87]
	v_add_f64 v[88:89], v[88:89], v[124:125]
	v_mul_f64 v[92:93], v[92:93], s[24:25]
	v_add_f64 v[124:125], v[160:161], v[144:145]
	v_mul_f64 v[134:135], v[148:149], s[0:1]
	v_fma_f64 v[122:123], v[150:151], s[12:13], -v[122:123]
	v_add_f64 v[144:145], v[132:133], v[102:103]
	v_add_f64 v[102:103], v[132:133], -v[102:103]
	v_mul_f64 v[132:133], v[142:143], s[2:3]
	v_add_f64 v[116:117], v[152:153], v[116:117]
	v_add_f64 v[110:111], v[110:111], v[128:129]
	;; [unrolled: 1-line block ×3, first 2 shown]
	v_fma_f64 v[130:131], v[90:91], s[14:15], v[130:131]
	v_mul_f64 v[146:147], v[86:87], s[12:13]
	v_fma_f64 v[148:149], v[150:151], s[0:1], v[92:93]
	v_fma_f64 v[152:153], v[90:91], s[6:7], v[134:135]
	v_fma_f64 v[92:93], v[150:151], s[0:1], -v[92:93]
	v_fma_f64 v[90:91], v[90:91], s[24:25], v[134:135]
	v_add_f64 v[98:99], v[122:123], v[98:99]
	v_fma_f64 v[122:123], v[144:145], s[12:13], v[132:133]
	v_add_f64 v[100:101], v[130:131], v[100:101]
	;; [unrolled: 2-line block ×3, first 2 shown]
	v_add_f64 v[134:135], v[152:153], v[154:155]
	v_add_f64 v[72:73], v[92:93], v[72:73]
	;; [unrolled: 1-line block ×3, first 2 shown]
	v_mul_f64 v[90:91], v[142:143], s[38:39]
	v_mul_f64 v[92:93], v[86:87], s[40:41]
	v_add_f64 v[94:95], v[122:123], v[94:95]
	v_fma_f64 v[122:123], v[144:145], s[12:13], -v[132:133]
	v_mul_f64 v[132:133], v[142:143], s[28:29]
	v_add_f64 v[96:97], v[130:131], v[96:97]
	v_fma_f64 v[130:131], v[102:103], s[2:3], v[146:147]
	v_mul_f64 v[146:147], v[86:87], s[26:27]
	v_fma_f64 v[148:149], v[144:145], s[40:41], v[90:91]
	v_fma_f64 v[150:151], v[102:103], s[42:43], v[92:93]
	v_fma_f64 v[90:91], v[144:145], s[40:41], -v[90:91]
	v_fma_f64 v[92:93], v[102:103], s[38:39], v[92:93]
	v_add_f64 v[106:107], v[122:123], v[106:107]
	v_fma_f64 v[122:123], v[144:145], s[26:27], v[132:133]
	v_add_f64 v[108:109], v[130:131], v[108:109]
	;; [unrolled: 2-line block ×3, first 2 shown]
	v_add_f64 v[118:119], v[150:151], v[118:119]
	v_add_f64 v[76:77], v[90:91], v[76:77]
	;; [unrolled: 1-line block ×3, first 2 shown]
	v_mul_f64 v[90:91], v[142:143], s[24:25]
	v_mul_f64 v[92:93], v[86:87], s[0:1]
	v_add_f64 v[114:115], v[122:123], v[114:115]
	v_mul_f64 v[122:123], v[142:143], s[16:17]
	v_add_f64 v[120:121], v[130:131], v[120:121]
	v_mul_f64 v[130:131], v[86:87], s[18:19]
	v_fma_f64 v[132:133], v[144:145], s[26:27], -v[132:133]
	v_fma_f64 v[146:147], v[102:103], s[28:29], v[146:147]
	v_fma_f64 v[148:149], v[144:145], s[0:1], v[90:91]
	;; [unrolled: 1-line block ×3, first 2 shown]
	v_fma_f64 v[90:91], v[144:145], s[0:1], -v[90:91]
	v_fma_f64 v[92:93], v[102:103], s[24:25], v[92:93]
	v_fma_f64 v[152:153], v[144:145], s[18:19], v[122:123]
	;; [unrolled: 1-line block ×3, first 2 shown]
	v_add_f64 v[112:113], v[132:133], v[112:113]
	v_mul_f64 v[86:87], v[86:87], s[34:35]
	v_fma_f64 v[122:123], v[144:145], s[18:19], -v[122:123]
	v_add_f64 v[132:133], v[150:151], v[136:137]
	v_add_f64 v[88:89], v[90:91], v[88:89]
	;; [unrolled: 1-line block ×4, first 2 shown]
	v_add_f64 v[124:125], v[140:141], -v[82:83]
	v_add_f64 v[82:83], v[140:141], v[82:83]
	v_add_f64 v[110:111], v[154:155], v[128:129]
	v_mul_f64 v[128:129], v[142:143], s[30:31]
	v_add_f64 v[136:137], v[138:139], v[80:81]
	v_add_f64 v[80:81], v[138:139], -v[80:81]
	v_add_f64 v[116:117], v[146:147], v[116:117]
	v_fma_f64 v[130:131], v[102:103], s[16:17], v[130:131]
	v_mul_f64 v[138:139], v[124:125], s[22:23]
	v_mul_f64 v[140:141], v[82:83], s[26:27]
	v_fma_f64 v[146:147], v[102:103], s[36:37], v[86:87]
	v_fma_f64 v[142:143], v[144:145], s[34:35], v[128:129]
	v_fma_f64 v[128:129], v[144:145], s[34:35], -v[128:129]
	v_fma_f64 v[86:87], v[102:103], s[30:31], v[86:87]
	v_add_f64 v[98:99], v[122:123], v[98:99]
	v_add_f64 v[100:101], v[130:131], v[100:101]
	v_fma_f64 v[102:103], v[136:137], s[26:27], v[138:139]
	v_fma_f64 v[122:123], v[80:81], s[28:29], v[140:141]
	v_add_f64 v[130:131], v[146:147], v[134:135]
	v_mul_f64 v[134:135], v[124:125], s[24:25]
	v_add_f64 v[72:73], v[128:129], v[72:73]
	v_add_f64 v[74:75], v[86:87], v[74:75]
	v_mul_f64 v[86:87], v[124:125], s[36:37]
	v_mul_f64 v[128:129], v[82:83], s[34:35]
	v_add_f64 v[94:95], v[102:103], v[94:95]
	v_add_f64 v[96:97], v[122:123], v[96:97]
	v_fma_f64 v[102:103], v[136:137], s[26:27], -v[138:139]
	v_fma_f64 v[122:123], v[80:81], s[22:23], v[140:141]
	v_mul_f64 v[138:139], v[82:83], s[0:1]
	v_add_f64 v[104:105], v[142:143], v[104:105]
	v_fma_f64 v[140:141], v[136:137], s[34:35], v[86:87]
	v_fma_f64 v[142:143], v[80:81], s[30:31], v[128:129]
	v_fma_f64 v[86:87], v[136:137], s[34:35], -v[86:87]
	v_fma_f64 v[128:129], v[80:81], s[36:37], v[128:129]
	v_add_f64 v[102:103], v[102:103], v[106:107]
	v_add_f64 v[106:107], v[122:123], v[108:109]
	v_fma_f64 v[108:109], v[136:137], s[0:1], v[134:135]
	v_fma_f64 v[122:123], v[80:81], s[6:7], v[138:139]
	v_add_f64 v[84:85], v[140:141], v[84:85]
	v_add_f64 v[118:119], v[142:143], v[118:119]
	;; [unrolled: 1-line block ×4, first 2 shown]
	v_mul_f64 v[86:87], v[124:125], s[2:3]
	v_mul_f64 v[128:129], v[82:83], s[12:13]
	v_add_f64 v[108:109], v[108:109], v[114:115]
	v_add_f64 v[114:115], v[122:123], v[120:121]
	v_fma_f64 v[120:121], v[136:137], s[0:1], -v[134:135]
	v_mul_f64 v[134:135], v[124:125], s[42:43]
	v_fma_f64 v[122:123], v[80:81], s[24:25], v[138:139]
	v_mul_f64 v[138:139], v[82:83], s[40:41]
	v_fma_f64 v[140:141], v[136:137], s[12:13], v[86:87]
	v_fma_f64 v[142:143], v[80:81], s[14:15], v[128:129]
	v_fma_f64 v[86:87], v[136:137], s[12:13], -v[86:87]
	v_fma_f64 v[128:129], v[80:81], s[2:3], v[128:129]
	v_add_f64 v[112:113], v[120:121], v[112:113]
	v_fma_f64 v[120:121], v[136:137], s[40:41], v[134:135]
	v_add_f64 v[116:117], v[122:123], v[116:117]
	v_fma_f64 v[122:123], v[80:81], s[38:39], v[138:139]
	v_mul_f64 v[82:83], v[82:83], s[18:19]
	v_add_f64 v[126:127], v[156:157], v[126:127]
	v_add_f64 v[86:87], v[86:87], v[88:89]
	;; [unrolled: 1-line block ×3, first 2 shown]
	v_mul_f64 v[90:91], v[124:125], s[20:21]
	v_add_f64 v[92:93], v[120:121], v[92:93]
	v_add_f64 v[120:121], v[66:67], -v[70:71]
	v_add_f64 v[66:67], v[66:67], v[70:71]
	v_add_f64 v[110:111], v[122:123], v[110:111]
	v_fma_f64 v[70:71], v[136:137], s[40:41], -v[134:135]
	v_fma_f64 v[122:123], v[80:81], s[42:43], v[138:139]
	v_add_f64 v[134:135], v[64:65], v[68:69]
	v_fma_f64 v[124:125], v[136:137], s[18:19], v[90:91]
	v_add_f64 v[64:65], v[64:65], -v[68:69]
	v_mul_f64 v[68:69], v[120:121], s[30:31]
	v_mul_f64 v[138:139], v[66:67], s[34:35]
	v_fma_f64 v[90:91], v[136:137], s[18:19], -v[90:91]
	v_fma_f64 v[128:129], v[80:81], s[16:17], v[82:83]
	v_fma_f64 v[80:81], v[80:81], s[20:21], v[82:83]
	v_add_f64 v[70:71], v[70:71], v[98:99]
	v_add_f64 v[82:83], v[122:123], v[100:101]
	;; [unrolled: 1-line block ×3, first 2 shown]
	v_fma_f64 v[104:105], v[134:135], s[34:35], v[68:69]
	v_fma_f64 v[122:123], v[64:65], s[36:37], v[138:139]
	v_add_f64 v[72:73], v[90:91], v[72:73]
	v_mul_f64 v[90:91], v[66:67], s[12:13]
	v_add_f64 v[100:101], v[128:129], v[130:131]
	v_add_f64 v[74:75], v[80:81], v[74:75]
	v_mul_f64 v[80:81], v[120:121], s[14:15]
	v_fma_f64 v[68:69], v[134:135], s[34:35], -v[68:69]
	v_fma_f64 v[124:125], v[64:65], s[30:31], v[138:139]
	v_add_f64 v[94:95], v[104:105], v[94:95]
	v_add_f64 v[96:97], v[122:123], v[96:97]
	v_mul_f64 v[104:105], v[120:121], s[16:17]
	v_mul_f64 v[122:123], v[66:67], s[18:19]
	v_fma_f64 v[130:131], v[64:65], s[2:3], v[90:91]
	v_fma_f64 v[128:129], v[134:135], s[12:13], v[80:81]
	v_add_f64 v[68:69], v[68:69], v[102:103]
	v_add_f64 v[102:103], v[124:125], v[106:107]
	v_fma_f64 v[80:81], v[134:135], s[12:13], -v[80:81]
	v_fma_f64 v[90:91], v[64:65], s[14:15], v[90:91]
	v_fma_f64 v[106:107], v[134:135], s[18:19], v[104:105]
	;; [unrolled: 1-line block ×3, first 2 shown]
	v_add_f64 v[118:119], v[130:131], v[118:119]
	v_mul_f64 v[130:131], v[66:67], s[40:41]
	v_add_f64 v[132:133], v[142:143], v[132:133]
	v_fma_f64 v[104:105], v[134:135], s[18:19], -v[104:105]
	v_add_f64 v[76:77], v[80:81], v[76:77]
	v_add_f64 v[78:79], v[90:91], v[78:79]
	;; [unrolled: 1-line block ×4, first 2 shown]
	v_fma_f64 v[106:107], v[64:65], s[16:17], v[122:123]
	v_fma_f64 v[114:115], v[64:65], s[38:39], v[130:131]
	v_mul_f64 v[122:123], v[120:121], s[24:25]
	v_add_f64 v[126:127], v[148:149], v[126:127]
	v_add_f64 v[84:85], v[128:129], v[84:85]
	v_mul_f64 v[128:129], v[120:121], s[42:43]
	v_mul_f64 v[124:125], v[66:67], s[0:1]
	v_add_f64 v[104:105], v[104:105], v[112:113]
	v_add_f64 v[106:107], v[106:107], v[116:117]
	;; [unrolled: 1-line block ×3, first 2 shown]
	v_fma_f64 v[114:115], v[134:135], s[0:1], v[122:123]
	v_add_f64 v[126:127], v[140:141], v[126:127]
	v_mul_f64 v[120:121], v[120:121], s[22:23]
	v_fma_f64 v[108:109], v[134:135], s[40:41], v[128:129]
	v_fma_f64 v[128:129], v[134:135], s[40:41], -v[128:129]
	v_fma_f64 v[116:117], v[64:65], s[6:7], v[124:125]
	v_fma_f64 v[122:123], v[134:135], s[0:1], -v[122:123]
	v_fma_f64 v[124:125], v[64:65], s[24:25], v[124:125]
	v_add_f64 v[92:93], v[114:115], v[92:93]
	v_add_f64 v[114:115], v[58:59], -v[62:63]
	v_mul_f64 v[66:67], v[66:67], s[26:27]
	v_add_f64 v[108:109], v[108:109], v[126:127]
	v_add_f64 v[86:87], v[128:129], v[86:87]
	;; [unrolled: 1-line block ×4, first 2 shown]
	v_fma_f64 v[58:59], v[134:135], s[26:27], v[120:121]
	v_add_f64 v[126:127], v[56:57], v[60:61]
	v_add_f64 v[128:129], v[56:57], -v[60:61]
	v_mul_f64 v[56:57], v[114:115], s[38:39]
	v_fma_f64 v[130:131], v[64:65], s[42:43], v[130:131]
	v_add_f64 v[122:123], v[122:123], v[70:71]
	v_add_f64 v[124:125], v[124:125], v[82:83]
	v_fma_f64 v[62:63], v[64:65], s[28:29], v[66:67]
	v_mul_f64 v[60:61], v[116:117], s[40:41]
	v_fma_f64 v[70:71], v[134:135], s[26:27], -v[120:121]
	v_fma_f64 v[64:65], v[64:65], s[22:23], v[66:67]
	v_add_f64 v[98:99], v[58:59], v[98:99]
	v_mul_f64 v[82:83], v[114:115], s[24:25]
	v_mul_f64 v[120:121], v[116:117], s[0:1]
	v_fma_f64 v[58:59], v[126:127], s[40:41], v[56:57]
	v_add_f64 v[88:89], v[130:131], v[88:89]
	v_add_f64 v[100:101], v[62:63], v[100:101]
	v_fma_f64 v[62:63], v[128:129], s[42:43], v[60:61]
	v_add_f64 v[130:131], v[70:71], v[72:73]
	v_add_f64 v[132:133], v[64:65], v[74:75]
	v_fma_f64 v[64:65], v[126:127], s[40:41], -v[56:57]
	v_fma_f64 v[66:67], v[128:129], s[38:39], v[60:61]
	v_fma_f64 v[70:71], v[126:127], s[0:1], v[82:83]
	;; [unrolled: 1-line block ×3, first 2 shown]
	v_add_f64 v[56:57], v[58:59], v[94:95]
	v_mul_f64 v[74:75], v[114:115], s[30:31]
	v_mul_f64 v[94:95], v[116:117], s[34:35]
	v_add_f64 v[58:59], v[62:63], v[96:97]
	v_add_f64 v[60:61], v[64:65], v[68:69]
	;; [unrolled: 1-line block ×5, first 2 shown]
	v_fma_f64 v[68:69], v[126:127], s[0:1], -v[82:83]
	v_fma_f64 v[70:71], v[128:129], s[24:25], v[120:121]
	v_fma_f64 v[72:73], v[126:127], s[34:35], v[74:75]
	;; [unrolled: 1-line block ×3, first 2 shown]
	v_mul_f64 v[84:85], v[114:115], s[20:21]
	v_mul_f64 v[96:97], v[116:117], s[18:19]
	v_fma_f64 v[94:95], v[128:129], s[30:31], v[94:95]
	v_fma_f64 v[102:103], v[126:127], s[34:35], -v[74:75]
	v_add_f64 v[68:69], v[68:69], v[76:77]
	v_add_f64 v[70:71], v[70:71], v[78:79]
	;; [unrolled: 1-line block ×4, first 2 shown]
	v_fma_f64 v[80:81], v[126:127], s[18:19], v[84:85]
	v_fma_f64 v[82:83], v[128:129], s[16:17], v[96:97]
	v_add_f64 v[78:79], v[94:95], v[106:107]
	v_fma_f64 v[84:85], v[126:127], s[18:19], -v[84:85]
	v_fma_f64 v[90:91], v[128:129], s[20:21], v[96:97]
	v_mul_f64 v[94:95], v[114:115], s[22:23]
	v_mul_f64 v[96:97], v[116:117], s[26:27]
	v_add_f64 v[76:77], v[102:103], v[104:105]
	v_mul_f64 v[102:103], v[114:115], s[14:15]
	v_mul_f64 v[104:105], v[116:117], s[12:13]
	v_add_f64 v[80:81], v[80:81], v[108:109]
	v_add_f64 v[84:85], v[84:85], v[86:87]
	;; [unrolled: 1-line block ×3, first 2 shown]
	v_fma_f64 v[88:89], v[126:127], s[26:27], v[94:95]
	v_fma_f64 v[90:91], v[128:129], s[28:29], v[96:97]
	v_fma_f64 v[94:95], v[126:127], s[26:27], -v[94:95]
	v_fma_f64 v[96:97], v[128:129], s[22:23], v[96:97]
	v_fma_f64 v[106:107], v[126:127], s[12:13], v[102:103]
	;; [unrolled: 1-line block ×3, first 2 shown]
	v_fma_f64 v[102:103], v[126:127], s[12:13], -v[102:103]
	v_fma_f64 v[104:105], v[128:129], s[14:15], v[104:105]
	v_add_f64 v[82:83], v[82:83], v[112:113]
	v_add_f64 v[88:89], v[88:89], v[92:93]
	;; [unrolled: 1-line block ×9, first 2 shown]
	ds_write_b128 v226, v[52:55]
	ds_write_b128 v226, v[56:59] offset:416
	ds_write_b128 v226, v[64:67] offset:832
	;; [unrolled: 1-line block ×12, first 2 shown]
	s_waitcnt lgkmcnt(0)
	; wave barrier
	s_waitcnt lgkmcnt(0)
	ds_read_b128 v[52:55], v226
	ds_read_b128 v[56:59], v226 offset:416
	v_mad_u64_u32 v[60:61], s[0:1], s10, v184, 0
	s_mul_i32 s2, s9, 0x1a0
	s_waitcnt lgkmcnt(1)
	v_mul_f64 v[62:63], v[50:51], v[54:55]
	v_mul_f64 v[50:51], v[50:51], v[52:53]
	s_mul_hi_u32 s3, s8, 0x1a0
	s_add_i32 s2, s3, s2
	s_mul_i32 s3, s8, 0x1a0
	v_mad_u64_u32 v[64:65], s[0:1], s11, v184, v[61:62]
	v_mad_u64_u32 v[65:66], s[0:1], s8, v225, 0
	v_fma_f64 v[52:53], v[48:49], v[52:53], v[62:63]
	v_fma_f64 v[50:51], v[48:49], v[54:55], -v[50:51]
	v_mov_b32_e32 v48, v66
	v_mad_u64_u32 v[54:55], s[0:1], s9, v225, v[48:49]
	s_mov_b32 s0, 0x7ab2bedd
	s_mov_b32 s1, 0x3f683c97
	v_mov_b32_e32 v66, v54
	s_waitcnt lgkmcnt(0)
	v_mul_f64 v[54:55], v[34:35], v[58:59]
	v_mul_f64 v[34:35], v[34:35], v[56:57]
	v_mov_b32_e32 v61, v64
	v_mul_f64 v[48:49], v[52:53], s[0:1]
	v_mul_f64 v[50:51], v[50:51], s[0:1]
	v_lshlrev_b64 v[52:53], 4, v[60:61]
	v_mov_b32_e32 v60, s5
	v_add_co_u32_e32 v61, vcc, s4, v52
	v_fma_f64 v[54:55], v[32:33], v[56:57], v[54:55]
	v_fma_f64 v[56:57], v[32:33], v[58:59], -v[34:35]
	ds_read_b128 v[32:35], v226 offset:832
	v_addc_co_u32_e32 v60, vcc, v60, v53, vcc
	v_lshlrev_b64 v[52:53], 4, v[65:66]
	v_mov_b32_e32 v62, s2
	v_add_co_u32_e32 v58, vcc, v61, v52
	v_addc_co_u32_e32 v59, vcc, v60, v53, vcc
	global_store_dwordx4 v[58:59], v[48:51], off
	v_add_co_u32_e32 v58, vcc, s3, v58
	v_mul_f64 v[48:49], v[54:55], s[0:1]
	ds_read_b128 v[52:55], v226 offset:1248
	s_waitcnt lgkmcnt(1)
	v_mul_f64 v[60:61], v[42:43], v[34:35]
	v_mul_f64 v[42:43], v[42:43], v[32:33]
	;; [unrolled: 1-line block ×3, first 2 shown]
	v_addc_co_u32_e32 v59, vcc, v59, v62, vcc
	s_waitcnt lgkmcnt(0)
	v_mul_f64 v[56:57], v[18:19], v[54:55]
	v_mul_f64 v[18:19], v[18:19], v[52:53]
	v_fma_f64 v[32:33], v[40:41], v[32:33], v[60:61]
	v_fma_f64 v[34:35], v[40:41], v[34:35], -v[42:43]
	ds_read_b128 v[40:43], v226 offset:1664
	global_store_dwordx4 v[58:59], v[48:51], off
	v_mov_b32_e32 v60, s2
	v_fma_f64 v[48:49], v[16:17], v[52:53], v[56:57]
	v_fma_f64 v[50:51], v[16:17], v[54:55], -v[18:19]
	ds_read_b128 v[16:19], v226 offset:2080
	v_mul_f64 v[32:33], v[32:33], s[0:1]
	v_mul_f64 v[34:35], v[34:35], s[0:1]
	s_waitcnt lgkmcnt(1)
	v_mul_f64 v[52:53], v[46:47], v[42:43]
	v_mul_f64 v[46:47], v[46:47], v[40:41]
	v_add_co_u32_e32 v54, vcc, s3, v58
	v_addc_co_u32_e32 v55, vcc, v59, v60, vcc
	global_store_dwordx4 v[54:55], v[32:35], off
	s_nop 0
	v_mul_f64 v[32:33], v[48:49], s[0:1]
	v_mul_f64 v[34:35], v[50:51], s[0:1]
	v_fma_f64 v[40:41], v[44:45], v[40:41], v[52:53]
	v_fma_f64 v[42:43], v[44:45], v[42:43], -v[46:47]
	s_waitcnt lgkmcnt(0)
	v_mul_f64 v[44:45], v[14:15], v[18:19]
	v_mul_f64 v[14:15], v[14:15], v[16:17]
	v_mov_b32_e32 v48, s2
	v_add_co_u32_e32 v46, vcc, s3, v54
	v_addc_co_u32_e32 v47, vcc, v55, v48, vcc
	global_store_dwordx4 v[46:47], v[32:35], off
	v_fma_f64 v[16:17], v[12:13], v[16:17], v[44:45]
	v_mul_f64 v[32:33], v[40:41], s[0:1]
	v_mul_f64 v[34:35], v[42:43], s[0:1]
	ds_read_b128 v[40:43], v226 offset:2496
	v_fma_f64 v[18:19], v[12:13], v[18:19], -v[14:15]
	ds_read_b128 v[12:15], v226 offset:2912
	v_add_co_u32_e32 v46, vcc, s3, v46
	s_waitcnt lgkmcnt(1)
	v_mul_f64 v[44:45], v[38:39], v[42:43]
	v_mul_f64 v[38:39], v[38:39], v[40:41]
	v_addc_co_u32_e32 v47, vcc, v47, v48, vcc
	global_store_dwordx4 v[46:47], v[32:35], off
	v_mul_f64 v[16:17], v[16:17], s[0:1]
	v_mul_f64 v[18:19], v[18:19], s[0:1]
	v_fma_f64 v[32:33], v[36:37], v[40:41], v[44:45]
	v_fma_f64 v[34:35], v[36:37], v[42:43], -v[38:39]
	s_waitcnt lgkmcnt(0)
	v_mul_f64 v[36:37], v[10:11], v[14:15]
	v_mul_f64 v[10:11], v[10:11], v[12:13]
	v_add_co_u32_e32 v38, vcc, s3, v46
	v_addc_co_u32_e32 v39, vcc, v47, v48, vcc
	global_store_dwordx4 v[38:39], v[16:19], off
	v_mov_b32_e32 v40, s2
	v_mul_f64 v[16:17], v[32:33], s[0:1]
	v_mul_f64 v[18:19], v[34:35], s[0:1]
	ds_read_b128 v[32:35], v226 offset:3328
	v_fma_f64 v[12:13], v[8:9], v[12:13], v[36:37]
	v_fma_f64 v[14:15], v[8:9], v[14:15], -v[10:11]
	ds_read_b128 v[8:11], v226 offset:3744
	v_add_co_u32_e32 v38, vcc, s3, v38
	s_waitcnt lgkmcnt(1)
	v_mul_f64 v[36:37], v[26:27], v[34:35]
	v_mul_f64 v[26:27], v[26:27], v[32:33]
	v_addc_co_u32_e32 v39, vcc, v39, v40, vcc
	global_store_dwordx4 v[38:39], v[16:19], off
	v_mul_f64 v[12:13], v[12:13], s[0:1]
	v_mul_f64 v[14:15], v[14:15], s[0:1]
	v_fma_f64 v[16:17], v[24:25], v[32:33], v[36:37]
	v_fma_f64 v[18:19], v[24:25], v[34:35], -v[26:27]
	s_waitcnt lgkmcnt(0)
	v_mul_f64 v[24:25], v[6:7], v[10:11]
	v_mul_f64 v[6:7], v[6:7], v[8:9]
	v_add_co_u32_e32 v26, vcc, s3, v38
	v_addc_co_u32_e32 v27, vcc, v39, v40, vcc
	global_store_dwordx4 v[26:27], v[12:15], off
	v_mov_b32_e32 v32, s2
	v_mul_f64 v[12:13], v[16:17], s[0:1]
	v_mul_f64 v[14:15], v[18:19], s[0:1]
	ds_read_b128 v[16:19], v226 offset:4160
	v_fma_f64 v[8:9], v[4:5], v[8:9], v[24:25]
	v_fma_f64 v[10:11], v[4:5], v[10:11], -v[6:7]
	ds_read_b128 v[4:7], v226 offset:4576
	v_add_co_u32_e32 v26, vcc, s3, v26
	s_waitcnt lgkmcnt(1)
	v_mul_f64 v[24:25], v[30:31], v[18:19]
	v_mul_f64 v[30:31], v[30:31], v[16:17]
	v_addc_co_u32_e32 v27, vcc, v27, v32, vcc
	global_store_dwordx4 v[26:27], v[12:15], off
	ds_read_b128 v[12:15], v226 offset:4992
	v_mul_f64 v[8:9], v[8:9], s[0:1]
	v_mul_f64 v[10:11], v[10:11], s[0:1]
	v_fma_f64 v[16:17], v[28:29], v[16:17], v[24:25]
	v_add_co_u32_e32 v24, vcc, s3, v26
	v_addc_co_u32_e32 v25, vcc, v27, v32, vcc
	s_waitcnt lgkmcnt(1)
	v_mul_f64 v[26:27], v[2:3], v[6:7]
	v_mul_f64 v[2:3], v[2:3], v[4:5]
	v_fma_f64 v[18:19], v[28:29], v[18:19], -v[30:31]
	s_waitcnt lgkmcnt(0)
	v_mul_f64 v[28:29], v[22:23], v[14:15]
	v_mul_f64 v[22:23], v[22:23], v[12:13]
	global_store_dwordx4 v[24:25], v[8:11], off
	v_fma_f64 v[4:5], v[0:1], v[4:5], v[26:27]
	v_fma_f64 v[2:3], v[0:1], v[6:7], -v[2:3]
	v_mul_f64 v[8:9], v[16:17], s[0:1]
	v_fma_f64 v[6:7], v[20:21], v[12:13], v[28:29]
	v_fma_f64 v[12:13], v[20:21], v[14:15], -v[22:23]
	v_mul_f64 v[10:11], v[18:19], s[0:1]
	v_mov_b32_e32 v16, s2
	v_add_co_u32_e32 v14, vcc, s3, v24
	v_mul_f64 v[0:1], v[4:5], s[0:1]
	v_mul_f64 v[2:3], v[2:3], s[0:1]
	;; [unrolled: 1-line block ×4, first 2 shown]
	v_addc_co_u32_e32 v15, vcc, v25, v16, vcc
	global_store_dwordx4 v[14:15], v[8:11], off
	s_nop 0
	v_mov_b32_e32 v9, s2
	v_add_co_u32_e32 v8, vcc, s3, v14
	v_addc_co_u32_e32 v9, vcc, v15, v9, vcc
	global_store_dwordx4 v[8:9], v[0:3], off
	s_nop 0
	v_mov_b32_e32 v1, s2
	v_add_co_u32_e32 v0, vcc, s3, v8
	v_addc_co_u32_e32 v1, vcc, v9, v1, vcc
	global_store_dwordx4 v[0:1], v[4:7], off
.LBB0_10:
	s_endpgm
	.section	.rodata,"a",@progbits
	.p2align	6, 0x0
	.amdhsa_kernel bluestein_single_fwd_len338_dim1_dp_op_CI_CI
		.amdhsa_group_segment_fixed_size 10816
		.amdhsa_private_segment_fixed_size 0
		.amdhsa_kernarg_size 104
		.amdhsa_user_sgpr_count 6
		.amdhsa_user_sgpr_private_segment_buffer 1
		.amdhsa_user_sgpr_dispatch_ptr 0
		.amdhsa_user_sgpr_queue_ptr 0
		.amdhsa_user_sgpr_kernarg_segment_ptr 1
		.amdhsa_user_sgpr_dispatch_id 0
		.amdhsa_user_sgpr_flat_scratch_init 0
		.amdhsa_user_sgpr_private_segment_size 0
		.amdhsa_uses_dynamic_stack 0
		.amdhsa_system_sgpr_private_segment_wavefront_offset 0
		.amdhsa_system_sgpr_workgroup_id_x 1
		.amdhsa_system_sgpr_workgroup_id_y 0
		.amdhsa_system_sgpr_workgroup_id_z 0
		.amdhsa_system_sgpr_workgroup_info 0
		.amdhsa_system_vgpr_workitem_id 0
		.amdhsa_next_free_vgpr 246
		.amdhsa_next_free_sgpr 46
		.amdhsa_reserve_vcc 1
		.amdhsa_reserve_flat_scratch 0
		.amdhsa_float_round_mode_32 0
		.amdhsa_float_round_mode_16_64 0
		.amdhsa_float_denorm_mode_32 3
		.amdhsa_float_denorm_mode_16_64 3
		.amdhsa_dx10_clamp 1
		.amdhsa_ieee_mode 1
		.amdhsa_fp16_overflow 0
		.amdhsa_exception_fp_ieee_invalid_op 0
		.amdhsa_exception_fp_denorm_src 0
		.amdhsa_exception_fp_ieee_div_zero 0
		.amdhsa_exception_fp_ieee_overflow 0
		.amdhsa_exception_fp_ieee_underflow 0
		.amdhsa_exception_fp_ieee_inexact 0
		.amdhsa_exception_int_div_zero 0
	.end_amdhsa_kernel
	.text
.Lfunc_end0:
	.size	bluestein_single_fwd_len338_dim1_dp_op_CI_CI, .Lfunc_end0-bluestein_single_fwd_len338_dim1_dp_op_CI_CI
                                        ; -- End function
	.section	.AMDGPU.csdata,"",@progbits
; Kernel info:
; codeLenInByte = 20828
; NumSgprs: 50
; NumVgprs: 246
; ScratchSize: 0
; MemoryBound: 0
; FloatMode: 240
; IeeeMode: 1
; LDSByteSize: 10816 bytes/workgroup (compile time only)
; SGPRBlocks: 6
; VGPRBlocks: 61
; NumSGPRsForWavesPerEU: 50
; NumVGPRsForWavesPerEU: 246
; Occupancy: 1
; WaveLimiterHint : 1
; COMPUTE_PGM_RSRC2:SCRATCH_EN: 0
; COMPUTE_PGM_RSRC2:USER_SGPR: 6
; COMPUTE_PGM_RSRC2:TRAP_HANDLER: 0
; COMPUTE_PGM_RSRC2:TGID_X_EN: 1
; COMPUTE_PGM_RSRC2:TGID_Y_EN: 0
; COMPUTE_PGM_RSRC2:TGID_Z_EN: 0
; COMPUTE_PGM_RSRC2:TIDIG_COMP_CNT: 0
	.type	__hip_cuid_7464c3319adbe2c5,@object ; @__hip_cuid_7464c3319adbe2c5
	.section	.bss,"aw",@nobits
	.globl	__hip_cuid_7464c3319adbe2c5
__hip_cuid_7464c3319adbe2c5:
	.byte	0                               ; 0x0
	.size	__hip_cuid_7464c3319adbe2c5, 1

	.ident	"AMD clang version 19.0.0git (https://github.com/RadeonOpenCompute/llvm-project roc-6.4.0 25133 c7fe45cf4b819c5991fe208aaa96edf142730f1d)"
	.section	".note.GNU-stack","",@progbits
	.addrsig
	.addrsig_sym __hip_cuid_7464c3319adbe2c5
	.amdgpu_metadata
---
amdhsa.kernels:
  - .args:
      - .actual_access:  read_only
        .address_space:  global
        .offset:         0
        .size:           8
        .value_kind:     global_buffer
      - .actual_access:  read_only
        .address_space:  global
        .offset:         8
        .size:           8
        .value_kind:     global_buffer
      - .actual_access:  read_only
        .address_space:  global
        .offset:         16
        .size:           8
        .value_kind:     global_buffer
      - .actual_access:  read_only
        .address_space:  global
        .offset:         24
        .size:           8
        .value_kind:     global_buffer
      - .actual_access:  read_only
        .address_space:  global
        .offset:         32
        .size:           8
        .value_kind:     global_buffer
      - .offset:         40
        .size:           8
        .value_kind:     by_value
      - .address_space:  global
        .offset:         48
        .size:           8
        .value_kind:     global_buffer
      - .address_space:  global
        .offset:         56
        .size:           8
        .value_kind:     global_buffer
      - .address_space:  global
        .offset:         64
        .size:           8
        .value_kind:     global_buffer
      - .address_space:  global
        .offset:         72
        .size:           8
        .value_kind:     global_buffer
      - .offset:         80
        .size:           4
        .value_kind:     by_value
      - .address_space:  global
        .offset:         88
        .size:           8
        .value_kind:     global_buffer
      - .address_space:  global
        .offset:         96
        .size:           8
        .value_kind:     global_buffer
    .group_segment_fixed_size: 10816
    .kernarg_segment_align: 8
    .kernarg_segment_size: 104
    .language:       OpenCL C
    .language_version:
      - 2
      - 0
    .max_flat_workgroup_size: 52
    .name:           bluestein_single_fwd_len338_dim1_dp_op_CI_CI
    .private_segment_fixed_size: 0
    .sgpr_count:     50
    .sgpr_spill_count: 0
    .symbol:         bluestein_single_fwd_len338_dim1_dp_op_CI_CI.kd
    .uniform_work_group_size: 1
    .uses_dynamic_stack: false
    .vgpr_count:     246
    .vgpr_spill_count: 0
    .wavefront_size: 64
amdhsa.target:   amdgcn-amd-amdhsa--gfx906
amdhsa.version:
  - 1
  - 2
...

	.end_amdgpu_metadata
